;; amdgpu-corpus repo=ROCm/rocFFT kind=compiled arch=gfx1030 opt=O3
	.text
	.amdgcn_target "amdgcn-amd-amdhsa--gfx1030"
	.amdhsa_code_object_version 6
	.protected	bluestein_single_back_len1664_dim1_sp_op_CI_CI ; -- Begin function bluestein_single_back_len1664_dim1_sp_op_CI_CI
	.globl	bluestein_single_back_len1664_dim1_sp_op_CI_CI
	.p2align	8
	.type	bluestein_single_back_len1664_dim1_sp_op_CI_CI,@function
bluestein_single_back_len1664_dim1_sp_op_CI_CI: ; @bluestein_single_back_len1664_dim1_sp_op_CI_CI
; %bb.0:
	s_load_dwordx4 s[0:3], s[4:5], 0x28
	v_mul_u32_u24_e32 v1, 0x13c, v0
	v_mov_b32_e32 v33, 0
	v_lshrrev_b32_e32 v1, 16, v1
	v_add_nc_u32_e32 v32, s6, v1
	s_waitcnt lgkmcnt(0)
	v_cmp_gt_u64_e32 vcc_lo, s[0:1], v[32:33]
	s_and_saveexec_b32 s0, vcc_lo
	s_cbranch_execz .LBB0_15
; %bb.1:
	v_mul_lo_u16 v1, 0xd0, v1
	s_clause 0x1
	s_load_dwordx2 s[14:15], s[4:5], 0x0
	s_load_dwordx2 s[12:13], s[4:5], 0x38
	v_sub_nc_u16 v0, v0, v1
	v_and_b32_e32 v79, 0xffff, v0
	v_cmp_gt_u16_e32 vcc_lo, 0x80, v0
	v_lshlrev_b32_e32 v92, 3, v79
	v_or_b32_e32 v80, 0x80, v79
	v_or_b32_e32 v81, 0x100, v79
	;; [unrolled: 1-line block ×12, first 2 shown]
	s_and_saveexec_b32 s1, vcc_lo
	s_cbranch_execz .LBB0_3
; %bb.2:
	s_load_dwordx2 s[6:7], s[4:5], 0x18
	v_lshlrev_b32_e32 v16, 3, v81
	v_lshlrev_b32_e32 v25, 3, v82
	;; [unrolled: 1-line block ×11, first 2 shown]
	s_waitcnt lgkmcnt(0)
	s_load_dwordx4 s[8:11], s[6:7], 0x0
	s_clause 0x2
	global_load_dwordx2 v[0:1], v92, s[14:15]
	global_load_dwordx2 v[2:3], v92, s[14:15] offset:1024
	global_load_dwordx2 v[16:17], v16, s[14:15]
	s_waitcnt lgkmcnt(0)
	v_mad_u64_u32 v[4:5], null, s10, v32, 0
	v_mad_u64_u32 v[6:7], null, s8, v79, 0
	v_mad_u64_u32 v[8:9], null, s8, v80, 0
	v_mad_u64_u32 v[10:11], null, s8, v81, 0
	v_mad_u64_u32 v[12:13], null, s8, v82, 0
	v_mad_u64_u32 v[14:15], null, s8, v83, 0
	v_mad_u64_u32 v[18:19], null, s11, v32, v[5:6]
	v_mad_u64_u32 v[19:20], null, s9, v79, v[7:8]
	v_mad_u64_u32 v[20:21], null, s9, v80, v[9:10]
	v_mad_u64_u32 v[21:22], null, s9, v81, v[11:12]
	v_mad_u64_u32 v[22:23], null, s9, v82, v[13:14]
	v_mov_b32_e32 v5, v18
	v_mov_b32_e32 v7, v19
	;; [unrolled: 1-line block ×3, first 2 shown]
	v_mad_u64_u32 v[18:19], null, s8, v85, 0
	v_lshlrev_b64 v[4:5], 3, v[4:5]
	v_mov_b32_e32 v11, v21
	v_mad_u64_u32 v[20:21], null, s8, v86, 0
	v_mov_b32_e32 v13, v22
	v_lshlrev_b64 v[6:7], 3, v[6:7]
	v_add_co_u32 v49, s0, s2, v4
	v_add_co_ci_u32_e64 v50, s0, s3, v5, s0
	v_lshlrev_b64 v[8:9], 3, v[8:9]
	v_lshlrev_b64 v[10:11], 3, v[10:11]
	v_add_co_u32 v6, s0, v49, v6
	v_mad_u64_u32 v[28:29], null, s8, v88, 0
	v_mad_u64_u32 v[30:31], null, s8, v89, 0
	;; [unrolled: 1-line block ×3, first 2 shown]
	v_add_co_ci_u32_e64 v7, s0, v50, v7, s0
	v_lshlrev_b64 v[12:13], 3, v[12:13]
	v_add_co_u32 v8, s0, v49, v8
	v_add_co_ci_u32_e64 v9, s0, v50, v9, s0
	v_add_co_u32 v10, s0, v49, v10
	v_add_co_ci_u32_e64 v11, s0, v50, v11, s0
	;; [unrolled: 2-line block ×3, first 2 shown]
	s_waitcnt vmcnt(0)
	v_mad_u64_u32 v[23:24], null, s9, v83, v[15:16]
	s_clause 0x1
	global_load_dwordx2 v[24:25], v25, s[14:15]
	global_load_dwordx2 v[26:27], v26, s[14:15]
	v_mov_b32_e32 v15, v23
	v_mad_u64_u32 v[22:23], null, s8, v87, 0
	v_lshlrev_b64 v[4:5], 3, v[14:15]
	v_mad_u64_u32 v[14:15], null, s8, v84, 0
	v_add_co_u32 v4, s0, v49, v4
	v_add_co_ci_u32_e64 v5, s0, v50, v5, s0
	v_mad_u64_u32 v[35:36], null, s9, v84, v[15:16]
	v_mad_u64_u32 v[36:37], null, s9, v85, v[19:20]
	;; [unrolled: 1-line block ×3, first 2 shown]
	s_clause 0x4
	global_load_dwordx2 v[6:7], v[6:7], off
	global_load_dwordx2 v[8:9], v[8:9], off
	;; [unrolled: 1-line block ×5, first 2 shown]
	v_mov_b32_e32 v15, v35
	v_mov_b32_e32 v19, v36
	v_mad_u64_u32 v[35:36], null, s9, v88, v[29:30]
	v_mov_b32_e32 v29, v34
	v_lshlrev_b64 v[14:15], 3, v[14:15]
	v_mov_b32_e32 v21, v37
	v_mad_u64_u32 v[36:37], null, s9, v89, v[31:32]
	v_lshlrev_b64 v[18:19], 3, v[18:19]
	v_lshlrev_b64 v[20:21], 3, v[20:21]
	v_add_co_u32 v14, s0, v49, v14
	v_add_co_ci_u32_e64 v15, s0, v50, v15, s0
	v_add_co_u32 v18, s0, v49, v18
	v_mov_b32_e32 v31, v36
	v_add_co_ci_u32_e64 v19, s0, v50, v19, s0
	v_add_co_u32 v20, s0, v49, v20
	v_add_co_ci_u32_e64 v21, s0, v50, v21, s0
	s_waitcnt vmcnt(6)
	v_mad_u64_u32 v[38:39], null, s9, v87, v[23:24]
	v_mad_u64_u32 v[39:40], null, s8, v91, 0
	v_mov_b32_e32 v23, v38
	v_mad_u64_u32 v[37:38], null, s9, v90, v[29:30]
	v_mov_b32_e32 v29, v35
	v_mov_b32_e32 v34, v40
	v_lshlrev_b64 v[22:23], 3, v[22:23]
	v_lshlrev_b64 v[30:31], 3, v[30:31]
	;; [unrolled: 1-line block ×3, first 2 shown]
	v_mad_u64_u32 v[40:41], null, s9, v91, v[34:35]
	v_mov_b32_e32 v34, v37
	v_add_co_u32 v22, s0, v49, v22
	v_add_co_ci_u32_e64 v23, s0, v50, v23, s0
	v_lshlrev_b64 v[33:34], 3, v[33:34]
	v_add_co_u32 v28, s0, v49, v28
	v_add_co_ci_u32_e64 v29, s0, v50, v29, s0
	v_lshlrev_b64 v[39:40], 3, v[39:40]
	v_add_co_u32 v30, s0, v49, v30
	v_add_co_ci_u32_e64 v31, s0, v50, v31, s0
	v_add_co_u32 v33, s0, v49, v33
	v_add_co_ci_u32_e64 v34, s0, v50, v34, s0
	s_clause 0x4
	global_load_dwordx2 v[41:42], v42, s[14:15]
	global_load_dwordx2 v[35:36], v43, s[14:15]
	;; [unrolled: 1-line block ×5, first 2 shown]
	s_clause 0x1
	global_load_dwordx2 v[14:15], v[14:15], off
	global_load_dwordx2 v[18:19], v[18:19], off
	v_add_co_u32 v39, s0, v49, v39
	s_clause 0x1
	global_load_dwordx2 v[20:21], v[20:21], off
	global_load_dwordx2 v[22:23], v[22:23], off
	global_load_dwordx2 v[47:48], v47, s[14:15]
	global_load_dwordx2 v[28:29], v[28:29], off
	v_add_co_ci_u32_e64 v40, s0, v50, v40, s0
	global_load_dwordx2 v[30:31], v[30:31], off
	global_load_dwordx2 v[49:50], v52, s[14:15]
	global_load_dwordx2 v[33:34], v[33:34], off
	global_load_dwordx2 v[51:52], v51, s[14:15]
	global_load_dwordx2 v[39:40], v[39:40], off
	s_waitcnt vmcnt(20)
	v_mul_f32_e32 v53, v7, v1
	v_mul_f32_e32 v54, v6, v1
	s_waitcnt vmcnt(19)
	v_mul_f32_e32 v1, v9, v3
	v_mul_f32_e32 v56, v8, v3
	;; [unrolled: 3-line block ×5, first 2 shown]
	v_fmac_f32_e32 v53, v6, v0
	v_fma_f32 v54, v7, v0, -v54
	v_fmac_f32_e32 v1, v8, v2
	v_fma_f32 v2, v9, v2, -v56
	;; [unrolled: 2-line block ×4, first 2 shown]
	v_fma_f32 v60, v5, v26, -v61
	v_fmac_f32_e32 v59, v4, v26
	s_waitcnt vmcnt(10)
	v_mul_f32_e32 v62, v14, v42
	v_mul_f32_e32 v3, v15, v42
	s_waitcnt vmcnt(9)
	v_mul_f32_e32 v63, v18, v36
	v_mul_f32_e32 v25, v19, v36
	s_waitcnt vmcnt(8)
	v_mul_f32_e32 v17, v21, v44
	v_mul_f32_e32 v64, v20, v44
	s_waitcnt vmcnt(7)
	v_mul_f32_e32 v42, v23, v38
	v_mul_f32_e32 v65, v22, v38
	s_waitcnt vmcnt(5)
	v_mul_f32_e32 v36, v29, v46
	v_mul_f32_e32 v46, v28, v46
	s_waitcnt vmcnt(4)
	v_mul_f32_e32 v27, v31, v48
	v_mul_f32_e32 v48, v30, v48
	s_waitcnt vmcnt(2)
	v_mul_f32_e32 v44, v34, v50
	v_mul_f32_e32 v50, v33, v50
	s_waitcnt vmcnt(0)
	v_mul_f32_e32 v38, v40, v52
	v_mul_f32_e32 v52, v39, v52
	v_fma_f32 v4, v15, v41, -v62
	v_fmac_f32_e32 v3, v14, v41
	v_fma_f32 v26, v19, v35, -v63
	v_fmac_f32_e32 v25, v18, v35
	v_fmac_f32_e32 v17, v20, v43
	v_fma_f32 v18, v21, v43, -v64
	v_fma_f32 v43, v23, v37, -v65
	v_fmac_f32_e32 v42, v22, v37
	v_fma_f32 v37, v29, v45, -v46
	v_fmac_f32_e32 v36, v28, v45
	v_fmac_f32_e32 v27, v30, v47
	v_fma_f32 v28, v31, v47, -v48
	v_fmac_f32_e32 v44, v33, v49
	v_fma_f32 v45, v34, v49, -v50
	;; [unrolled: 2-line block ×3, first 2 shown]
	ds_write2st64_b64 v92, v[53:54], v[1:2] offset1:2
	ds_write2st64_b64 v92, v[55:56], v[57:58] offset0:4 offset1:6
	ds_write2st64_b64 v92, v[59:60], v[3:4] offset0:8 offset1:10
	;; [unrolled: 1-line block ×5, first 2 shown]
	ds_write_b64 v92, v[38:39] offset:12288
.LBB0_3:
	s_or_b32 exec_lo, exec_lo, s1
	s_clause 0x1
	s_load_dwordx2 s[2:3], s[4:5], 0x20
	s_load_dwordx2 s[0:1], s[4:5], 0x8
	v_mov_b32_e32 v8, 0
	v_mov_b32_e32 v9, 0
	s_waitcnt lgkmcnt(0)
	s_barrier
	buffer_gl0_inv
                                        ; implicit-def: $vgpr22
                                        ; implicit-def: $vgpr16
                                        ; implicit-def: $vgpr12
                                        ; implicit-def: $vgpr35
                                        ; implicit-def: $vgpr26
                                        ; implicit-def: $vgpr30
	s_and_saveexec_b32 s4, vcc_lo
	s_cbranch_execz .LBB0_5
; %bb.4:
	ds_read2st64_b64 v[8:11], v92 offset1:2
	ds_read2st64_b64 v[28:31], v92 offset0:4 offset1:6
	ds_read2st64_b64 v[24:27], v92 offset0:8 offset1:10
	;; [unrolled: 1-line block ×5, first 2 shown]
	ds_read_b64 v[35:36], v92 offset:12288
.LBB0_5:
	s_or_b32 exec_lo, exec_lo, s4
	s_waitcnt lgkmcnt(0)
	v_sub_f32_e32 v61, v11, v36
	v_add_f32_e32 v37, v35, v10
	v_sub_f32_e32 v68, v29, v15
	v_sub_f32_e32 v65, v10, v35
	v_add_f32_e32 v39, v14, v28
	v_mul_f32_e32 v43, 0xbeedf032, v61
	v_sub_f32_e32 v76, v31, v13
	v_mul_f32_e32 v46, 0xbf52af12, v68
	v_add_f32_e32 v38, v36, v11
	v_mul_f32_e32 v44, 0xbeedf032, v65
	v_fmamk_f32 v0, v37, 0x3f62ad3f, v43
	v_sub_f32_e32 v74, v28, v14
	v_fmamk_f32 v2, v39, 0x3f116cb1, v46
	v_add_f32_e32 v41, v12, v30
	v_mul_f32_e32 v49, 0xbf7e222b, v76
	v_add_f32_e32 v0, v0, v8
	v_sub_f32_e32 v99, v25, v19
	v_fma_f32 v1, 0x3f62ad3f, v38, -v44
	v_add_f32_e32 v40, v15, v29
	v_mul_f32_e32 v48, 0xbf52af12, v74
	v_sub_f32_e32 v78, v30, v12
	v_add_f32_e32 v0, v2, v0
	v_fmamk_f32 v2, v41, 0x3df6dbef, v49
	v_add_f32_e32 v45, v18, v24
	v_mul_f32_e32 v53, 0xbf6f5d39, v99
	v_sub_f32_e32 v102, v27, v17
	v_add_f32_e32 v1, v1, v9
	v_fma_f32 v3, 0x3f116cb1, v40, -v48
	v_add_f32_e32 v42, v13, v31
	v_mul_f32_e32 v51, 0xbf7e222b, v78
	v_sub_f32_e32 v101, v24, v18
	v_add_f32_e32 v0, v2, v0
	v_fmamk_f32 v2, v45, 0xbeb58ec6, v53
	v_add_f32_e32 v50, v16, v26
	v_mul_f32_e32 v57, 0xbf29c268, v102
	v_sub_f32_e32 v108, v21, v23
	v_add_f32_e32 v1, v3, v1
	v_fma_f32 v3, 0x3df6dbef, v42, -v51
	v_add_f32_e32 v47, v19, v25
	v_mul_f32_e32 v54, 0xbf6f5d39, v101
	v_sub_f32_e32 v103, v26, v16
	v_add_f32_e32 v0, v2, v0
	v_fmamk_f32 v2, v50, 0xbf3f9e67, v57
	v_add_f32_e32 v55, v22, v20
	v_mul_f32_e32 v59, 0xbe750f2a, v108
	v_add_f32_e32 v1, v3, v1
	v_fma_f32 v3, 0xbeb58ec6, v47, -v54
	v_add_f32_e32 v52, v17, v27
	v_mul_f32_e32 v58, 0xbf29c268, v103
	v_add_f32_e32 v0, v2, v0
	v_fmamk_f32 v2, v55, 0xbf788fa5, v59
	v_mul_f32_e32 v62, 0xbf52af12, v61
	v_add_f32_e32 v1, v3, v1
	v_fma_f32 v3, 0xbf3f9e67, v52, -v58
	v_sub_f32_e32 v109, v20, v22
	v_mul_f32_e32 v71, 0xbf52af12, v65
	v_add_f32_e32 v33, v2, v0
	v_fmamk_f32 v0, v37, 0x3f116cb1, v62
	v_mul_f32_e32 v63, 0xbf6f5d39, v68
	v_add_f32_e32 v1, v3, v1
	v_add_f32_e32 v56, v23, v21
	v_mul_f32_e32 v60, 0xbe750f2a, v109
	v_fma_f32 v3, 0x3f116cb1, v38, -v71
	v_mul_f32_e32 v72, 0xbf6f5d39, v74
	v_add_f32_e32 v0, v0, v8
	v_fmamk_f32 v4, v39, 0xbeb58ec6, v63
	v_mul_f32_e32 v64, 0xbe750f2a, v76
	v_fma_f32 v2, 0xbf788fa5, v56, -v60
	v_add_f32_e32 v3, v3, v9
	v_fma_f32 v5, 0xbeb58ec6, v40, -v72
	v_mul_f32_e32 v70, 0xbe750f2a, v78
	v_add_f32_e32 v0, v4, v0
	v_fmamk_f32 v4, v41, 0xbf788fa5, v64
	v_mul_f32_e32 v67, 0x3f29c268, v99
	v_add_f32_e32 v3, v5, v3
	v_fma_f32 v5, 0xbf788fa5, v42, -v70
	v_add_f32_e32 v34, v2, v1
	v_add_f32_e32 v0, v4, v0
	v_fmamk_f32 v1, v45, 0xbf3f9e67, v67
	v_mul_f32_e32 v73, 0x3f29c268, v101
	v_mul_f32_e32 v69, 0x3f7e222b, v102
	;; [unrolled: 1-line block ×3, first 2 shown]
	v_add_f32_e32 v2, v5, v3
	v_add_f32_e32 v0, v1, v0
	v_fma_f32 v1, 0xbf3f9e67, v47, -v73
	v_mul_f32_e32 v75, 0x3f7e222b, v103
	v_fmamk_f32 v3, v50, 0x3df6dbef, v69
	v_fmamk_f32 v4, v37, 0x3df6dbef, v100
	v_mul_f32_e32 v96, 0xbe750f2a, v68
	v_add_f32_e32 v1, v1, v2
	v_fma_f32 v2, 0x3df6dbef, v52, -v75
	v_add_f32_e32 v0, v3, v0
	v_add_f32_e32 v3, v4, v8
	v_fmamk_f32 v4, v39, 0xbf788fa5, v96
	v_mul_f32_e32 v93, 0x3f6f5d39, v76
	v_mul_f32_e32 v66, 0x3eedf032, v108
	v_add_f32_e32 v1, v2, v1
	v_mul_f32_e32 v95, 0x3eedf032, v99
	v_add_f32_e32 v2, v4, v3
	v_fmamk_f32 v3, v41, 0xbeb58ec6, v93
	v_fmamk_f32 v4, v55, 0x3f62ad3f, v66
	v_mul_f32_e32 v105, 0xbf7e222b, v65
	v_mul_f32_e32 v77, 0x3eedf032, v109
	v_fmamk_f32 v6, v45, 0x3f62ad3f, v95
	v_add_f32_e32 v3, v3, v2
	v_mul_f32_e32 v97, 0xbf52af12, v102
	v_add_f32_e32 v2, v4, v0
	v_fma_f32 v0, 0x3df6dbef, v38, -v105
	v_mul_f32_e32 v107, 0xbe750f2a, v74
	v_fma_f32 v5, 0x3f62ad3f, v56, -v77
	v_add_f32_e32 v4, v6, v3
	v_fmamk_f32 v6, v50, 0x3f116cb1, v97
	v_mul_f32_e32 v98, 0xbf29c268, v108
	v_add_f32_e32 v0, v0, v9
	v_fma_f32 v7, 0xbf788fa5, v40, -v107
	v_mul_f32_e32 v106, 0x3f6f5d39, v78
	v_add_f32_e32 v3, v5, v1
	v_add_f32_e32 v1, v6, v4
	v_fmamk_f32 v4, v55, 0xbf3f9e67, v98
	v_add_f32_e32 v5, v7, v0
	v_fma_f32 v6, 0xbeb58ec6, v42, -v106
	v_mul_f32_e32 v104, 0x3eedf032, v101
	v_mul_f32_e32 v114, 0xbf6f5d39, v61
	;; [unrolled: 1-line block ×3, first 2 shown]
	v_add_f32_e32 v0, v4, v1
	v_add_f32_e32 v1, v6, v5
	v_fma_f32 v4, 0x3f62ad3f, v47, -v104
	v_fmamk_f32 v5, v37, 0xbeb58ec6, v114
	v_mul_f32_e32 v116, 0x3f29c268, v68
	v_fma_f32 v6, 0xbeb58ec6, v38, -v119
	v_mul_f32_e32 v121, 0x3f29c268, v74
	v_add_f32_e32 v1, v4, v1
	v_add_f32_e32 v4, v5, v8
	v_fmamk_f32 v5, v39, 0xbf3f9e67, v116
	v_add_f32_e32 v6, v6, v9
	v_fma_f32 v7, 0xbf3f9e67, v40, -v121
	v_mul_f32_e32 v112, 0x3eedf032, v76
	v_mul_f32_e32 v113, 0xbf7e222b, v99
	v_add_f32_e32 v4, v5, v4
	v_mul_f32_e32 v115, 0x3e750f2a, v102
	v_add_f32_e32 v5, v7, v6
	v_fmamk_f32 v6, v41, 0x3f62ad3f, v112
	v_mul_f32_e32 v124, 0xbf29c268, v61
	v_mul_f32_e32 v134, 0xbf29c268, v65
	;; [unrolled: 1-line block ×4, first 2 shown]
	v_add_f32_e32 v4, v6, v4
	v_fmamk_f32 v6, v45, 0x3df6dbef, v113
	v_fma_f32 v125, 0xbf3f9e67, v38, -v134
	v_mul_f32_e32 v122, 0x3eedf032, v78
	v_fmamk_f32 v126, v39, 0x3df6dbef, v129
	v_mul_f32_e32 v128, 0xbf52af12, v76
	v_add_f32_e32 v4, v6, v4
	v_fmamk_f32 v6, v50, 0xbf788fa5, v115
	v_add_f32_e32 v125, v125, v9
	v_fma_f32 v130, 0x3df6dbef, v40, -v135
	v_mul_f32_e32 v133, 0xbf52af12, v78
	v_fma_f32 v7, 0x3f62ad3f, v42, -v122
	v_add_f32_e32 v4, v6, v4
	v_fmamk_f32 v6, v37, 0xbf3f9e67, v124
	v_mul_f32_e32 v118, 0xbf7e222b, v101
	v_mul_f32_e32 v127, 0x3e750f2a, v99
	v_add_f32_e32 v125, v130, v125
	v_fma_f32 v130, 0x3f116cb1, v42, -v133
	v_add_f32_e32 v6, v6, v8
	v_mul_f32_e32 v132, 0x3e750f2a, v101
	v_mul_f32_e32 v111, 0xbf52af12, v103
	v_add_f32_e32 v5, v7, v5
	v_fma_f32 v7, 0x3df6dbef, v47, -v118
	v_add_f32_e32 v6, v126, v6
	v_fmamk_f32 v126, v41, 0x3f116cb1, v128
	v_mul_f32_e32 v120, 0x3e750f2a, v103
	v_fmamk_f32 v136, v45, 0xbf788fa5, v127
	v_add_f32_e32 v130, v130, v125
	v_fma_f32 v137, 0xbf788fa5, v47, -v132
	v_add_f32_e32 v6, v126, v6
	v_mul_f32_e32 v126, 0x3eedf032, v102
	v_mul_f32_e32 v131, 0x3eedf032, v103
	v_fma_f32 v94, 0x3f116cb1, v52, -v111
	v_mul_f32_e32 v110, 0xbf29c268, v109
	v_add_f32_e32 v5, v7, v5
	v_fma_f32 v7, 0xbf788fa5, v52, -v120
	v_mul_f32_e32 v117, 0x3f52af12, v108
	v_mul_f32_e32 v123, 0x3f52af12, v109
	v_add_f32_e32 v6, v136, v6
	v_fmamk_f32 v136, v50, 0x3f62ad3f, v126
	v_mul_f32_e32 v125, 0xbf6f5d39, v108
	v_add_f32_e32 v137, v137, v130
	v_fma_f32 v138, 0x3f62ad3f, v52, -v131
	v_mul_f32_e32 v130, 0xbf6f5d39, v109
	v_add_f32_e32 v1, v94, v1
	v_fma_f32 v94, 0xbf3f9e67, v56, -v110
	v_add_f32_e32 v5, v7, v5
	v_fmamk_f32 v7, v55, 0x3f116cb1, v117
	v_fma_f32 v139, 0x3f116cb1, v56, -v123
	v_add_f32_e32 v136, v136, v6
	v_fmamk_f32 v140, v55, 0xbeb58ec6, v125
	v_add_f32_e32 v137, v138, v137
	v_fma_f32 v138, 0xbeb58ec6, v56, -v130
	v_add_f32_e32 v1, v94, v1
	v_add_f32_e32 v6, v7, v4
	;; [unrolled: 1-line block ×5, first 2 shown]
	v_mul_lo_u16 v94, v79, 13
	s_barrier
	buffer_gl0_inv
	s_and_saveexec_b32 s4, vcc_lo
	s_cbranch_execz .LBB0_7
; %bb.6:
	v_mul_f32_e32 v65, 0xbe750f2a, v65
	v_mul_f32_e32 v74, 0x3eedf032, v74
	;; [unrolled: 1-line block ×5, first 2 shown]
	v_fmamk_f32 v146, v38, 0xbf788fa5, v65
	v_mul_f32_e32 v152, 0x3f52af12, v101
	v_fma_f32 v151, 0xbf788fa5, v37, -v149
	v_mul_f32_e32 v76, 0xbf29c268, v76
	v_mul_f32_e32 v103, 0xbf6f5d39, v103
	v_add_f32_e32 v61, v146, v9
	v_fmamk_f32 v146, v40, 0x3f62ad3f, v74
	v_add_f32_e32 v101, v151, v8
	v_fma_f32 v151, 0x3f62ad3f, v39, -v68
	v_mul_f32_e32 v153, 0x3f52af12, v99
	v_fmamk_f32 v99, v52, 0xbeb58ec6, v103
	v_add_f32_e32 v61, v146, v61
	v_fmamk_f32 v146, v42, 0xbf3f9e67, v78
	v_add_f32_e32 v101, v151, v101
	v_fma_f32 v151, 0xbf3f9e67, v41, -v76
	v_mul_f32_e32 v145, 0xbf3f9e67, v38
	v_mul_f32_e32 v156, 0x3f7e222b, v109
	v_add_f32_e32 v61, v146, v61
	v_fmamk_f32 v146, v47, 0x3f116cb1, v152
	v_add_f32_e32 v101, v151, v101
	v_mul_f32_e32 v151, 0xbf6f5d39, v102
	v_mul_f32_e32 v102, 0x3df6dbef, v40
	v_mul_f32_e32 v144, 0xbf3f9e67, v37
	v_add_f32_e32 v61, v146, v61
	v_fma_f32 v146, 0x3f116cb1, v45, -v153
	v_fmamk_f32 v109, v56, 0x3df6dbef, v156
	v_mul_f32_e32 v143, 0xbeb58ec6, v38
	v_sub_f32_e32 v124, v144, v124
	v_add_f32_e32 v61, v99, v61
	v_add_f32_e32 v99, v146, v101
	v_fma_f32 v101, 0xbeb58ec6, v50, -v151
	v_mul_f32_e32 v146, 0x3f7e222b, v108
	v_add_f32_e32 v108, v134, v145
	v_add_f32_e32 v134, v135, v102
	;; [unrolled: 1-line block ×4, first 2 shown]
	v_fma_f32 v101, 0x3df6dbef, v55, -v146
	v_add_f32_e32 v108, v108, v9
	v_mul_f32_e32 v109, 0x3df6dbef, v39
	v_add_f32_e32 v124, v124, v8
	v_mul_f32_e32 v142, 0xbeb58ec6, v37
	v_add_f32_e32 v101, v101, v99
	v_mul_f32_e32 v99, 0x3f116cb1, v42
	v_add_f32_e32 v108, v134, v108
	v_sub_f32_e32 v109, v109, v129
	v_mul_f32_e32 v134, 0xbf3f9e67, v40
	v_add_f32_e32 v119, v119, v143
	v_add_f32_e32 v99, v133, v99
	v_mul_f32_e32 v133, 0xbf788fa5, v47
	v_add_f32_e32 v109, v109, v124
	v_mul_f32_e32 v61, 0xbf3f9e67, v39
	v_mul_f32_e32 v143, 0x3f62ad3f, v42
	v_add_f32_e32 v99, v99, v108
	v_mul_f32_e32 v108, 0x3f116cb1, v41
	v_add_f32_e32 v132, v132, v133
	v_add_f32_e32 v121, v121, v134
	;; [unrolled: 1-line block ×3, first 2 shown]
	v_sub_f32_e32 v114, v142, v114
	v_sub_f32_e32 v108, v108, v128
	v_add_f32_e32 v99, v132, v99
	v_mul_f32_e32 v132, 0xbf788fa5, v45
	v_mul_f32_e32 v124, 0x3f62ad3f, v52
	v_add_f32_e32 v119, v121, v119
	v_add_f32_e32 v108, v108, v109
	v_mul_f32_e32 v109, 0xbeb58ec6, v56
	v_sub_f32_e32 v127, v132, v127
	v_add_f32_e32 v122, v122, v143
	v_sub_f32_e32 v61, v61, v116
	v_add_f32_e32 v114, v114, v8
	v_add_f32_e32 v109, v130, v109
	v_mul_f32_e32 v130, 0x3f62ad3f, v50
	v_add_f32_e32 v108, v127, v108
	v_mul_f32_e32 v127, 0x3f62ad3f, v41
	v_add_f32_e32 v124, v131, v124
	v_add_f32_e32 v119, v122, v119
	v_sub_f32_e32 v126, v130, v126
	v_mul_f32_e32 v130, 0xbeb58ec6, v55
	v_mul_f32_e32 v122, 0x3df6dbef, v45
	v_add_f32_e32 v61, v61, v114
	v_sub_f32_e32 v112, v127, v112
	v_add_f32_e32 v108, v126, v108
	v_sub_f32_e32 v125, v130, v125
	v_add_f32_e32 v99, v124, v99
	v_mul_f32_e32 v127, 0xbf788fa5, v50
	v_add_f32_e32 v61, v112, v61
	v_sub_f32_e32 v113, v122, v113
	v_add_f32_e32 v108, v125, v108
	v_mul_f32_e32 v125, 0x3df6dbef, v47
	v_mul_f32_e32 v140, 0x3df6dbef, v37
	;; [unrolled: 1-line block ×3, first 2 shown]
	v_add_f32_e32 v109, v109, v99
	v_mul_f32_e32 v99, 0x3f62ad3f, v47
	v_add_f32_e32 v118, v118, v125
	v_mul_f32_e32 v125, 0xbf788fa5, v52
	v_add_f32_e32 v61, v113, v61
	v_sub_f32_e32 v115, v127, v115
	v_mul_f32_e32 v127, 0x3f116cb1, v56
	v_add_f32_e32 v118, v118, v119
	v_add_f32_e32 v120, v120, v125
	v_mul_f32_e32 v139, 0x3f116cb1, v38
	v_mul_f32_e32 v155, 0xbf788fa5, v39
	;; [unrolled: 1-line block ×3, first 2 shown]
	v_add_f32_e32 v105, v105, v141
	v_add_f32_e32 v99, v104, v99
	;; [unrolled: 1-line block ×5, first 2 shown]
	v_sub_f32_e32 v115, v140, v100
	v_mul_f32_e32 v138, 0x3f116cb1, v37
	v_mul_f32_e32 v154, 0xbeb58ec6, v40
	;; [unrolled: 1-line block ×4, first 2 shown]
	v_add_f32_e32 v107, v107, v135
	v_add_f32_e32 v105, v105, v9
	v_add_f32_e32 v100, v118, v104
	v_add_f32_e32 v71, v71, v139
	v_add_f32_e32 v104, v115, v8
	v_sub_f32_e32 v96, v155, v96
	v_mul_f32_e32 v150, 0xbeb58ec6, v39
	v_mul_f32_e32 v143, 0x3f62ad3f, v45
	v_add_f32_e32 v105, v107, v105
	v_add_f32_e32 v106, v106, v124
	v_add_f32_e32 v71, v71, v9
	v_add_f32_e32 v72, v72, v154
	v_sub_f32_e32 v62, v138, v62
	v_add_f32_e32 v96, v96, v104
	v_sub_f32_e32 v93, v132, v93
	v_mul_f32_e32 v128, 0xbf788fa5, v41
	v_mul_f32_e32 v114, 0x3f116cb1, v50
	;; [unrolled: 1-line block ×3, first 2 shown]
	v_add_f32_e32 v105, v106, v105
	v_mul_f32_e32 v106, 0x3f116cb1, v55
	v_add_f32_e32 v71, v72, v71
	v_add_f32_e32 v62, v62, v8
	v_sub_f32_e32 v63, v150, v63
	v_add_f32_e32 v72, v93, v96
	v_sub_f32_e32 v93, v143, v95
	v_mul_f32_e32 v137, 0x3f62ad3f, v38
	v_mul_f32_e32 v130, 0xbf3f9e67, v45
	;; [unrolled: 1-line block ×4, first 2 shown]
	v_sub_f32_e32 v106, v106, v117
	v_add_f32_e32 v105, v99, v105
	v_add_f32_e32 v111, v111, v141
	;; [unrolled: 1-line block ×3, first 2 shown]
	v_sub_f32_e32 v63, v128, v64
	v_add_f32_e32 v64, v93, v72
	v_sub_f32_e32 v72, v114, v97
	v_mul_f32_e32 v148, 0x3f116cb1, v40
	v_add_f32_e32 v99, v106, v61
	v_add_f32_e32 v61, v111, v105
	;; [unrolled: 1-line block ×4, first 2 shown]
	v_sub_f32_e32 v63, v130, v67
	v_add_f32_e32 v64, v72, v64
	v_sub_f32_e32 v67, v124, v98
	v_add_f32_e32 v72, v44, v137
	v_add_f32_e32 v11, v11, v9
	;; [unrolled: 1-line block ×3, first 2 shown]
	v_mul_f32_e32 v133, 0x3df6dbef, v42
	v_add_f32_e32 v63, v63, v62
	v_add_f32_e32 v62, v105, v61
	;; [unrolled: 1-line block ×7, first 2 shown]
	v_mul_f32_e32 v126, 0xbeb58ec6, v47
	v_add_f32_e32 v29, v51, v133
	v_add_f32_e32 v48, v48, v64
	;; [unrolled: 1-line block ×4, first 2 shown]
	v_mul_f32_e32 v116, 0xbf3f9e67, v52
	v_add_f32_e32 v28, v54, v126
	v_add_f32_e32 v29, v29, v48
	;; [unrolled: 1-line block ×4, first 2 shown]
	v_mul_f32_e32 v112, 0xbf788fa5, v56
	v_mul_f32_e32 v136, 0x3f62ad3f, v37
	v_add_f32_e32 v28, v28, v29
	v_add_f32_e32 v29, v58, v116
	;; [unrolled: 1-line block ×4, first 2 shown]
	v_mul_f32_e32 v147, 0x3f116cb1, v39
	v_sub_f32_e32 v43, v136, v43
	v_add_f32_e32 v27, v29, v28
	v_add_f32_e32 v11, v21, v11
	;; [unrolled: 1-line block ×4, first 2 shown]
	v_fmac_f32_e32 v149, 0xbf788fa5, v37
	v_mul_f32_e32 v129, 0x3df6dbef, v41
	v_add_f32_e32 v23, v23, v11
	v_add_f32_e32 v11, v21, v27
	v_fma_f32 v21, 0xbf788fa5, v38, -v65
	v_add_f32_e32 v43, v43, v8
	v_sub_f32_e32 v46, v147, v46
	v_add_f32_e32 v20, v22, v20
	v_mul_f32_e32 v131, 0xbf788fa5, v42
	v_add_f32_e32 v17, v17, v23
	v_add_f32_e32 v9, v21, v9
	v_fma_f32 v21, 0x3f62ad3f, v40, -v74
	v_add_f32_e32 v8, v149, v8
	v_fmac_f32_e32 v68, 0x3f62ad3f, v39
	v_mul_f32_e32 v134, 0xbeb58ec6, v45
	v_add_f32_e32 v43, v46, v43
	v_sub_f32_e32 v46, v129, v49
	v_add_f32_e32 v16, v16, v20
	v_mul_f32_e32 v121, 0xbf3f9e67, v47
	v_add_f32_e32 v70, v70, v131
	v_add_f32_e32 v17, v19, v17
	;; [unrolled: 1-line block ×3, first 2 shown]
	v_fma_f32 v19, 0xbf3f9e67, v42, -v78
	v_add_f32_e32 v8, v68, v8
	v_fmac_f32_e32 v76, 0xbf3f9e67, v41
	v_mul_f32_e32 v142, 0xbf3f9e67, v50
	v_add_f32_e32 v31, v46, v43
	v_sub_f32_e32 v25, v134, v53
	v_add_f32_e32 v16, v18, v16
	v_mul_f32_e32 v119, 0x3df6dbef, v50
	v_mul_f32_e32 v125, 0x3df6dbef, v52
	v_add_f32_e32 v70, v70, v71
	v_add_f32_e32 v71, v73, v121
	v_add_f32_e32 v13, v13, v17
	v_add_f32_e32 v9, v19, v9
	v_fma_f32 v17, 0x3f116cb1, v47, -v152
	v_add_f32_e32 v8, v76, v8
	v_fmac_f32_e32 v153, 0x3f116cb1, v45
	v_mul_f32_e32 v135, 0xbf788fa5, v55
	v_add_f32_e32 v25, v25, v31
	v_sub_f32_e32 v24, v142, v57
	v_add_f32_e32 v12, v12, v16
	v_mul_f32_e32 v122, 0x3f62ad3f, v55
	v_mul_f32_e32 v107, 0x3f62ad3f, v56
	v_add_f32_e32 v70, v71, v70
	v_add_f32_e32 v71, v75, v125
	v_sub_f32_e32 v69, v119, v69
	v_add_f32_e32 v13, v15, v13
	v_add_f32_e32 v15, v17, v9
	v_fma_f32 v16, 0xbeb58ec6, v52, -v103
	v_add_f32_e32 v8, v153, v8
	v_fmac_f32_e32 v151, 0xbeb58ec6, v50
	v_add_f32_e32 v24, v24, v25
	v_sub_f32_e32 v25, v135, v59
	v_add_f32_e32 v12, v14, v12
	v_mov_b32_e32 v14, 3
	v_add_f32_e32 v70, v71, v70
	v_add_f32_e32 v71, v77, v107
	v_add_f32_e32 v63, v69, v63
	v_sub_f32_e32 v66, v122, v66
	v_add_f32_e32 v9, v36, v13
	v_add_f32_e32 v13, v16, v15
	v_fma_f32 v15, 0x3df6dbef, v56, -v156
	v_add_f32_e32 v16, v151, v8
	v_fmac_f32_e32 v146, 0x3df6dbef, v55
	v_add_f32_e32 v10, v25, v24
	v_add_f32_e32 v8, v35, v12
	v_lshlrev_b32_sdwa v14, v14, v94 dst_sel:DWORD dst_unused:UNUSED_PAD src0_sel:DWORD src1_sel:WORD_0
	v_add_f32_e32 v44, v71, v70
	v_add_f32_e32 v43, v66, v63
	;; [unrolled: 1-line block ×4, first 2 shown]
	ds_write2_b64 v14, v[8:9], v[10:11] offset1:1
	ds_write2_b64 v14, v[43:44], v[61:62] offset0:2 offset1:3
	ds_write2_b64 v14, v[99:100], v[108:109] offset0:4 offset1:5
	;; [unrolled: 1-line block ×5, first 2 shown]
	ds_write_b64 v14, v[33:34] offset:96
.LBB0_7:
	s_or_b32 exec_lo, exec_lo, s4
	v_and_b32_e32 v8, 0xff, v79
	v_add_co_u32 v26, null, 0xd0, v79
	v_add_nc_u32_e32 v29, 0x1a0, v79
	v_add_nc_u32_e32 v30, 0x270, v79
	v_mul_lo_u16 v25, 0x4f, v8
	v_mov_b32_e32 v8, 0x4ec5
	v_mov_b32_e32 v16, 3
	s_load_dwordx4 s[4:7], s[2:3], 0x0
	s_waitcnt lgkmcnt(0)
	v_lshrrev_b16 v27, 10, v25
	v_mul_u32_u24_sdwa v28, v26, v8 dst_sel:DWORD dst_unused:UNUSED_PAD src0_sel:WORD_0 src1_sel:DWORD
	v_mul_u32_u24_sdwa v31, v29, v8 dst_sel:DWORD dst_unused:UNUSED_PAD src0_sel:WORD_0 src1_sel:DWORD
	;; [unrolled: 1-line block ×3, first 2 shown]
	s_barrier
	v_mul_lo_u16 v9, v27, 13
	v_lshrrev_b32_e32 v43, 18, v28
	v_lshrrev_b32_e32 v44, 18, v31
	v_lshrrev_b32_e32 v45, 18, v55
	buffer_gl0_inv
	v_sub_nc_u16 v8, v79, v9
	v_mul_lo_u16 v9, v43, 13
	v_mul_lo_u16 v10, v44, 13
	v_lshlrev_b32_sdwa v93, v16, v79 dst_sel:DWORD dst_unused:UNUSED_PAD src0_sel:DWORD src1_sel:WORD_0
	v_lshrrev_b16 v51, 11, v25
	v_and_b32_e32 v46, 0xff, v8
	v_mul_lo_u16 v8, v45, 13
	v_sub_nc_u16 v47, v26, v9
	v_sub_nc_u16 v48, v29, v10
	v_add_nc_u32_e32 v75, 0x1a00, v93
	v_lshlrev_b32_e32 v9, 3, v46
	v_sub_nc_u16 v49, v30, v8
	v_lshlrev_b32_sdwa v8, v16, v47 dst_sel:DWORD dst_unused:UNUSED_PAD src0_sel:DWORD src1_sel:WORD_0
	v_lshlrev_b32_sdwa v10, v16, v48 dst_sel:DWORD dst_unused:UNUSED_PAD src0_sel:DWORD src1_sel:WORD_0
	v_add_nc_u32_e32 v73, 0xc00, v93
	global_load_dwordx2 v[39:40], v9, s[0:1]
	v_lshlrev_b32_sdwa v9, v16, v49 dst_sel:DWORD dst_unused:UNUSED_PAD src0_sel:DWORD src1_sel:WORD_0
	v_add_nc_u32_e32 v74, 0x2600, v93
	s_clause 0x2
	global_load_dwordx2 v[41:42], v8, s[0:1]
	global_load_dwordx2 v[37:38], v10, s[0:1]
	global_load_dwordx2 v[35:36], v9, s[0:1]
	ds_read2_b64 v[8:11], v93 offset1:208
	ds_read2_b64 v[12:15], v75 offset1:208
	ds_read2_b64 v[17:20], v73 offset0:32 offset1:240
	ds_read2_b64 v[21:24], v74 offset0:32 offset1:240
	v_mov_b32_e32 v50, 26
	v_lshrrev_b32_e32 v52, 19, v28
	v_lshrrev_b32_e32 v53, 19, v31
	;; [unrolled: 1-line block ×3, first 2 shown]
	v_mul_lo_u16 v56, v51, 26
	v_mad_u16 v43, v43, 26, v47
	v_mad_u16 v44, v44, 26, v48
	v_mul_u32_u24_sdwa v27, v27, v50 dst_sel:DWORD dst_unused:UNUSED_PAD src0_sel:WORD_0 src1_sel:DWORD
	v_mad_u16 v45, v45, 26, v49
	v_mul_lo_u16 v57, v52, 26
	v_mul_lo_u16 v58, v53, 26
	;; [unrolled: 1-line block ×3, first 2 shown]
	v_sub_nc_u16 v50, v79, v56
	v_lshlrev_b32_sdwa v97, v16, v43 dst_sel:DWORD dst_unused:UNUSED_PAD src0_sel:DWORD src1_sel:WORD_0
	v_lshlrev_b32_sdwa v96, v16, v44 dst_sel:DWORD dst_unused:UNUSED_PAD src0_sel:DWORD src1_sel:WORD_0
	v_add_lshl_u32 v98, v27, v46, 3
	v_lshlrev_b32_sdwa v95, v16, v45 dst_sel:DWORD dst_unused:UNUSED_PAD src0_sel:DWORD src1_sel:WORD_0
	v_sub_nc_u16 v56, v26, v57
	v_sub_nc_u16 v57, v29, v58
	;; [unrolled: 1-line block ×3, first 2 shown]
	v_and_b32_e32 v59, 0xff, v50
	s_waitcnt vmcnt(0) lgkmcnt(0)
	v_lshlrev_b32_sdwa v49, v16, v56 dst_sel:DWORD dst_unused:UNUSED_PAD src0_sel:DWORD src1_sel:WORD_0
	v_lshlrev_b32_sdwa v60, v16, v57 dst_sel:DWORD dst_unused:UNUSED_PAD src0_sel:DWORD src1_sel:WORD_0
	s_barrier
	v_lshlrev_b32_e32 v27, 3, v59
	buffer_gl0_inv
	v_lshrrev_b32_e32 v31, 22, v31
	v_lshrrev_b32_e32 v55, 22, v55
	v_mul_lo_u16 v31, 0xd0, v31
	v_mul_lo_u16 v55, 0xd0, v55
	v_sub_nc_u16 v29, v29, v31
	v_lshlrev_b32_sdwa v99, v16, v29 dst_sel:DWORD dst_unused:UNUSED_PAD src0_sel:DWORD src1_sel:WORD_0
	v_mul_f32_e32 v43, v13, v40
	v_mul_f32_e32 v44, v12, v40
	;; [unrolled: 1-line block ×8, first 2 shown]
	v_fma_f32 v12, v12, v39, -v43
	v_fmac_f32_e32 v44, v13, v39
	v_fma_f32 v14, v14, v41, -v45
	v_fmac_f32_e32 v46, v15, v41
	;; [unrolled: 2-line block ×4, first 2 shown]
	v_sub_f32_e32 v12, v8, v12
	v_sub_f32_e32 v13, v9, v44
	;; [unrolled: 1-line block ×8, first 2 shown]
	v_fma_f32 v8, v8, 2.0, -v12
	v_fma_f32 v9, v9, 2.0, -v13
	;; [unrolled: 1-line block ×8, first 2 shown]
	ds_write2_b64 v98, v[8:9], v[12:13] offset1:13
	ds_write2_b64 v97, v[10:11], v[14:15] offset1:13
	;; [unrolled: 1-line block ×4, first 2 shown]
	s_waitcnt lgkmcnt(0)
	s_barrier
	buffer_gl0_inv
	global_load_dwordx2 v[47:48], v27, s[0:1] offset:104
	v_lshlrev_b32_sdwa v8, v16, v58 dst_sel:DWORD dst_unused:UNUSED_PAD src0_sel:DWORD src1_sel:WORD_0
	s_clause 0x2
	global_load_dwordx2 v[49:50], v49, s[0:1] offset:104
	global_load_dwordx2 v[45:46], v60, s[0:1] offset:104
	;; [unrolled: 1-line block ×3, first 2 shown]
	v_lshrrev_b16 v60, 12, v25
	v_lshrrev_b32_e32 v61, 20, v28
	v_mov_b32_e32 v8, 52
	v_mad_u16 v19, v52, 52, v56
	v_mad_u16 v20, v53, 52, v57
	v_mul_lo_u16 v12, v60, 52
	v_mul_lo_u16 v13, v61, 52
	v_mul_u32_u24_sdwa v17, v51, v8 dst_sel:DWORD dst_unused:UNUSED_PAD src0_sel:WORD_0 src1_sel:DWORD
	ds_read2_b64 v[8:11], v75 offset1:208
	v_mad_u16 v21, v54, 52, v58
	v_sub_nc_u16 v18, v79, v12
	v_sub_nc_u16 v62, v26, v13
	ds_read2_b64 v[12:15], v74 offset0:32 offset1:240
	v_add_lshl_u32 v103, v17, v59, 3
	v_lshlrev_b32_sdwa v102, v16, v19 dst_sel:DWORD dst_unused:UNUSED_PAD src0_sel:DWORD src1_sel:WORD_0
	v_and_b32_e32 v56, 0xff, v18
	v_mul_lo_u16 v18, v62, 24
	v_lshlrev_b32_sdwa v101, v16, v20 dst_sel:DWORD dst_unused:UNUSED_PAD src0_sel:DWORD src1_sel:WORD_0
	v_lshlrev_b32_sdwa v100, v16, v21 dst_sel:DWORD dst_unused:UNUSED_PAD src0_sel:DWORD src1_sel:WORD_0
	v_mad_u64_u32 v[25:26], null, v56, 24, s[0:1]
	v_and_b32_e32 v27, 0xffff, v18
	ds_read2_b64 v[17:20], v93 offset1:208
	ds_read2_b64 v[21:24], v73 offset0:32 offset1:240
	s_waitcnt vmcnt(0) lgkmcnt(0)
	s_barrier
	buffer_gl0_inv
	v_mul_f32_e32 v28, v9, v48
	v_mul_f32_e32 v51, v8, v48
	v_mul_f32_e32 v52, v11, v50
	v_mul_f32_e32 v53, v10, v50
	v_mul_f32_e32 v54, v13, v46
	v_mul_f32_e32 v57, v12, v46
	v_mul_f32_e32 v58, v15, v44
	v_mul_f32_e32 v59, v14, v44
	v_fma_f32 v8, v8, v47, -v28
	v_fmac_f32_e32 v51, v9, v47
	v_fma_f32 v10, v10, v49, -v52
	v_fmac_f32_e32 v53, v11, v49
	;; [unrolled: 2-line block ×4, first 2 shown]
	v_sub_f32_e32 v8, v17, v8
	v_sub_f32_e32 v9, v18, v51
	;; [unrolled: 1-line block ×8, first 2 shown]
	v_fma_f32 v17, v17, 2.0, -v8
	v_fma_f32 v18, v18, 2.0, -v9
	;; [unrolled: 1-line block ×8, first 2 shown]
	ds_write2_b64 v103, v[17:18], v[8:9] offset1:26
	ds_write2_b64 v102, v[19:20], v[10:11] offset1:26
	;; [unrolled: 1-line block ×4, first 2 shown]
	v_add_co_u32 v17, s2, s0, v27
	v_add_co_ci_u32_e64 v18, null, s1, 0, s2
	s_waitcnt lgkmcnt(0)
	s_barrier
	buffer_gl0_inv
	s_clause 0x3
	global_load_dwordx4 v[12:15], v[25:26], off offset:312
	global_load_dwordx2 v[53:54], v[25:26], off offset:328
	global_load_dwordx4 v[8:11], v[17:18], off offset:312
	global_load_dwordx2 v[51:52], v[17:18], off offset:328
	ds_read2_b64 v[17:20], v73 offset0:32 offset1:240
	ds_read2_b64 v[21:24], v75 offset1:208
	ds_read2_b64 v[25:28], v74 offset0:32 offset1:240
	v_mov_b32_e32 v57, 0xd0
	v_mul_u32_u24_sdwa v31, v60, v57 dst_sel:DWORD dst_unused:UNUSED_PAD src0_sel:WORD_0 src1_sel:DWORD
	v_mad_u16 v57, 0xd0, v61, v62
	v_sub_nc_u16 v62, v30, v55
	v_lshlrev_b32_e32 v61, 3, v79
	v_add_lshl_u32 v106, v31, v56, 3
	v_lshlrev_b32_sdwa v105, v16, v57 dst_sel:DWORD dst_unused:UNUSED_PAD src0_sel:DWORD src1_sel:WORD_0
	ds_read2_b64 v[55:58], v93 offset1:208
	v_lshlrev_b32_sdwa v104, v16, v62 dst_sel:DWORD dst_unused:UNUSED_PAD src0_sel:DWORD src1_sel:WORD_0
	s_waitcnt vmcnt(0) lgkmcnt(0)
	s_barrier
	buffer_gl0_inv
	v_mul_f32_e32 v60, v26, v54
	v_mul_f32_e32 v29, v18, v13
	;; [unrolled: 1-line block ×12, first 2 shown]
	v_fma_f32 v17, v17, v12, -v29
	v_fmac_f32_e32 v30, v18, v12
	v_fma_f32 v18, v21, v14, -v31
	v_fmac_f32_e32 v59, v22, v14
	;; [unrolled: 2-line block ×6, first 2 shown]
	v_sub_f32_e32 v23, v55, v18
	v_sub_f32_e32 v24, v56, v59
	v_sub_f32_e32 v18, v17, v21
	v_sub_f32_e32 v21, v30, v63
	v_sub_f32_e32 v27, v57, v20
	v_sub_f32_e32 v28, v58, v67
	v_sub_f32_e32 v20, v19, v22
	v_sub_f32_e32 v22, v65, v69
	v_fma_f32 v29, v55, 2.0, -v23
	v_fma_f32 v31, v56, 2.0, -v24
	;; [unrolled: 1-line block ×8, first 2 shown]
	v_sub_f32_e32 v17, v23, v21
	v_add_f32_e32 v18, v24, v18
	v_sub_f32_e32 v19, v27, v22
	v_sub_f32_e32 v21, v29, v25
	;; [unrolled: 1-line block ×3, first 2 shown]
	v_add_f32_e32 v20, v28, v20
	v_sub_f32_e32 v25, v55, v30
	v_sub_f32_e32 v26, v56, v57
	v_fma_f32 v23, v23, 2.0, -v17
	v_fma_f32 v24, v24, 2.0, -v18
	;; [unrolled: 1-line block ×8, first 2 shown]
	ds_write2_b64 v106, v[21:22], v[17:18] offset0:104 offset1:156
	ds_write2_b64 v106, v[29:30], v[23:24] offset1:52
	ds_write2_b64 v105, v[55:56], v[27:28] offset1:52
	ds_write2_b64 v105, v[25:26], v[19:20] offset0:104 offset1:156
	s_waitcnt lgkmcnt(0)
	s_barrier
	buffer_gl0_inv
	s_clause 0x2
	global_load_dwordx2 v[59:60], v61, s[0:1] offset:1560
	global_load_dwordx2 v[57:58], v99, s[0:1] offset:1560
	;; [unrolled: 1-line block ×3, first 2 shown]
	ds_read2_b64 v[16:19], v75 offset1:208
	ds_read2_b64 v[20:23], v74 offset0:32 offset1:240
	ds_read2_b64 v[24:27], v93 offset1:208
	ds_read2_b64 v[28:31], v73 offset0:32 offset1:240
	v_add_co_u32 v69, s0, s0, v61
	v_add_co_ci_u32_e64 v70, null, s1, 0, s0
	v_add_nc_u32_e32 v63, 0x1a00, v99
	v_add_co_u32 v61, s0, 0x800, v69
	v_add_co_ci_u32_e64 v62, s0, 0, v70, s0
	v_add_co_u32 v65, s0, 0x1000, v69
	v_add_co_ci_u32_e64 v66, s0, 0, v70, s0
	v_add_nc_u32_e32 v64, 0x2600, v104
	s_waitcnt vmcnt(0) lgkmcnt(0)
	s_barrier
	buffer_gl0_inv
	v_mul_f32_e32 v76, v21, v58
	v_mul_f32_e32 v67, v17, v60
	;; [unrolled: 1-line block ×8, first 2 shown]
	v_fma_f32 v16, v16, v59, -v67
	v_fmac_f32_e32 v68, v17, v59
	v_fma_f32 v18, v18, v59, -v71
	v_fmac_f32_e32 v72, v19, v59
	;; [unrolled: 2-line block ×4, first 2 shown]
	v_sub_f32_e32 v16, v24, v16
	v_sub_f32_e32 v17, v25, v68
	v_sub_f32_e32 v18, v26, v18
	v_sub_f32_e32 v19, v27, v72
	v_sub_f32_e32 v20, v28, v20
	v_sub_f32_e32 v21, v29, v77
	v_sub_f32_e32 v22, v30, v22
	v_sub_f32_e32 v23, v31, v107
	v_fma_f32 v24, v24, 2.0, -v16
	v_fma_f32 v25, v25, 2.0, -v17
	;; [unrolled: 1-line block ×8, first 2 shown]
	ds_write2_b64 v93, v[24:25], v[16:17] offset1:208
	ds_write2_b64 v73, v[26:27], v[18:19] offset0:32 offset1:240
	ds_write2_b64 v63, v[28:29], v[20:21] offset1:208
	ds_write2_b64 v64, v[30:31], v[22:23] offset0:32 offset1:240
	s_waitcnt lgkmcnt(0)
	s_barrier
	buffer_gl0_inv
	s_clause 0x1
	global_load_dwordx2 v[63:64], v[61:62], off offset:1176
	global_load_dwordx2 v[61:62], v[65:66], off offset:792
	ds_read2_b64 v[16:19], v75 offset1:208
	ds_read2_b64 v[20:23], v74 offset0:32 offset1:240
	ds_read2_b64 v[24:27], v93 offset1:208
	ds_read2_b64 v[28:31], v73 offset0:32 offset1:240
	v_add_co_u32 v65, s0, 0x1800, v69
	v_add_co_ci_u32_e64 v66, s0, 0, v70, s0
	v_add_co_u32 v67, s0, 0x2000, v69
	v_add_co_ci_u32_e64 v68, s0, 0, v70, s0
	s_waitcnt vmcnt(0) lgkmcnt(0)
	s_barrier
	buffer_gl0_inv
	v_mul_f32_e32 v71, v17, v64
	v_mul_f32_e32 v72, v16, v64
	;; [unrolled: 1-line block ×8, first 2 shown]
	v_fma_f32 v16, v16, v63, -v71
	v_fmac_f32_e32 v72, v17, v63
	v_fma_f32 v18, v18, v61, -v76
	v_fmac_f32_e32 v77, v19, v61
	;; [unrolled: 2-line block ×4, first 2 shown]
	v_sub_f32_e32 v16, v24, v16
	v_sub_f32_e32 v17, v25, v72
	;; [unrolled: 1-line block ×8, first 2 shown]
	v_fma_f32 v24, v24, 2.0, -v16
	v_fma_f32 v25, v25, 2.0, -v17
	;; [unrolled: 1-line block ×8, first 2 shown]
	ds_write2_b64 v73, v[16:17], v[18:19] offset0:32 offset1:240
	ds_write2_b64 v74, v[20:21], v[22:23] offset0:32 offset1:240
	ds_write2_b64 v93, v[24:25], v[26:27] offset1:208
	ds_write2_b64 v75, v[28:29], v[30:31] offset1:208
	v_add_co_u32 v16, s0, 0x2800, v69
	v_add_co_ci_u32_e64 v17, s0, 0, v70, s0
	s_waitcnt lgkmcnt(0)
	s_barrier
	buffer_gl0_inv
	s_clause 0x3
	global_load_dwordx2 v[65:66], v[65:66], off offset:408
	global_load_dwordx2 v[71:72], v[67:68], off offset:24
	;; [unrolled: 1-line block ×4, first 2 shown]
	ds_read2_b64 v[16:19], v75 offset1:208
	ds_read2_b64 v[20:23], v74 offset0:32 offset1:240
	ds_read2_b64 v[107:110], v93 offset1:208
	ds_read2_b64 v[111:114], v73 offset0:32 offset1:240
	s_waitcnt vmcnt(2) lgkmcnt(3)
	v_mul_f32_e32 v26, v19, v72
	v_mul_f32_e32 v24, v17, v66
	;; [unrolled: 1-line block ×4, first 2 shown]
	s_waitcnt vmcnt(1) lgkmcnt(2)
	v_mul_f32_e32 v28, v21, v70
	v_mul_f32_e32 v29, v20, v70
	s_waitcnt vmcnt(0)
	v_mul_f32_e32 v30, v23, v68
	v_mul_f32_e32 v31, v22, v68
	v_fma_f32 v16, v16, v65, -v24
	v_fmac_f32_e32 v25, v17, v65
	v_fma_f32 v17, v18, v71, -v26
	v_fmac_f32_e32 v27, v19, v71
	;; [unrolled: 2-line block ×4, first 2 shown]
	s_waitcnt lgkmcnt(1)
	v_sub_f32_e32 v18, v107, v16
	v_sub_f32_e32 v19, v108, v25
	;; [unrolled: 1-line block ×4, first 2 shown]
	s_waitcnt lgkmcnt(0)
	v_sub_f32_e32 v26, v111, v20
	v_sub_f32_e32 v27, v112, v29
	;; [unrolled: 1-line block ×4, first 2 shown]
	v_fma_f32 v16, v107, 2.0, -v18
	v_fma_f32 v17, v108, 2.0, -v19
	;; [unrolled: 1-line block ×8, first 2 shown]
	ds_write2_b64 v75, v[18:19], v[22:23] offset1:208
	ds_write2_b64 v74, v[26:27], v[30:31] offset0:32 offset1:240
	ds_write2_b64 v93, v[16:17], v[20:21] offset1:208
	ds_write2_b64 v73, v[24:25], v[28:29] offset0:32 offset1:240
	s_waitcnt lgkmcnt(0)
	s_barrier
	buffer_gl0_inv
	s_and_saveexec_b32 s2, vcc_lo
	s_cbranch_execz .LBB0_9
; %bb.8:
	s_add_u32 s0, s14, 0x3400
	s_addc_u32 s1, s15, 0
	v_or_b32_e32 v75, 0x800, v92
	global_load_dwordx2 v[73:74], v92, s[0:1]
	v_or_b32_e32 v76, 0xc00, v92
	global_load_dwordx2 v[77:78], v92, s[0:1] offset:1024
	v_or_b32_e32 v107, 0x1000, v92
	s_clause 0x1
	global_load_dwordx2 v[127:128], v75, s[0:1]
	global_load_dwordx2 v[129:130], v76, s[0:1]
	v_or_b32_e32 v75, 0x1400, v92
	v_or_b32_e32 v76, 0x1800, v92
	s_clause 0x2
	global_load_dwordx2 v[131:132], v107, s[0:1]
	global_load_dwordx2 v[133:134], v75, s[0:1]
	;; [unrolled: 1-line block ×3, first 2 shown]
	v_or_b32_e32 v75, 0x2000, v92
	v_or_b32_e32 v76, 0x2400, v92
	s_clause 0x1
	global_load_dwordx2 v[139:140], v75, s[0:1]
	global_load_dwordx2 v[141:142], v76, s[0:1]
	v_or_b32_e32 v107, 0x1c00, v92
	v_or_b32_e32 v75, 0x2c00, v92
	;; [unrolled: 1-line block ×3, first 2 shown]
	global_load_dwordx2 v[137:138], v107, s[0:1]
	v_or_b32_e32 v107, 0x2800, v92
	s_clause 0x2
	global_load_dwordx2 v[143:144], v107, s[0:1]
	global_load_dwordx2 v[145:146], v75, s[0:1]
	;; [unrolled: 1-line block ×3, first 2 shown]
	ds_read_b64 v[75:76], v93
	s_waitcnt vmcnt(12) lgkmcnt(0)
	v_mul_f32_e32 v107, v76, v74
	v_mul_f32_e32 v108, v75, v74
	v_fma_f32 v107, v75, v73, -v107
	v_fmac_f32_e32 v108, v76, v73
	ds_write_b64 v93, v[107:108]
	ds_read2st64_b64 v[73:76], v92 offset0:2 offset1:4
	ds_read2st64_b64 v[107:110], v92 offset0:6 offset1:8
	;; [unrolled: 1-line block ×6, first 2 shown]
	s_waitcnt vmcnt(11) lgkmcnt(5)
	v_mul_f32_e32 v150, v74, v78
	v_mul_f32_e32 v149, v73, v78
	s_waitcnt vmcnt(10)
	v_mul_f32_e32 v151, v76, v128
	v_mul_f32_e32 v78, v75, v128
	s_waitcnt vmcnt(9) lgkmcnt(4)
	v_mul_f32_e32 v152, v108, v130
	v_mul_f32_e32 v128, v107, v130
	s_waitcnt vmcnt(8)
	v_mul_f32_e32 v153, v110, v132
	v_mul_f32_e32 v130, v109, v132
	;; [unrolled: 6-line block ×3, first 2 shown]
	s_waitcnt vmcnt(3) lgkmcnt(2)
	v_mul_f32_e32 v156, v116, v138
	v_mul_f32_e32 v136, v115, v138
	v_mul_f32_e32 v157, v118, v140
	v_mul_f32_e32 v138, v117, v140
	s_waitcnt lgkmcnt(1)
	v_mul_f32_e32 v158, v120, v142
	v_mul_f32_e32 v140, v119, v142
	s_waitcnt vmcnt(2)
	v_mul_f32_e32 v159, v122, v144
	v_mul_f32_e32 v142, v121, v144
	s_waitcnt vmcnt(1) lgkmcnt(0)
	v_mul_f32_e32 v160, v124, v146
	v_mul_f32_e32 v144, v123, v146
	s_waitcnt vmcnt(0)
	v_mul_f32_e32 v161, v126, v148
	v_mul_f32_e32 v146, v125, v148
	v_fma_f32 v148, v73, v77, -v150
	v_fmac_f32_e32 v149, v74, v77
	v_fma_f32 v77, v75, v127, -v151
	v_fmac_f32_e32 v78, v76, v127
	;; [unrolled: 2-line block ×12, first 2 shown]
	ds_write2st64_b64 v92, v[148:149], v[77:78] offset0:2 offset1:4
	ds_write2st64_b64 v92, v[127:128], v[129:130] offset0:6 offset1:8
	;; [unrolled: 1-line block ×6, first 2 shown]
.LBB0_9:
	s_or_b32 exec_lo, exec_lo, s2
	s_waitcnt lgkmcnt(0)
	s_barrier
	buffer_gl0_inv
	s_and_saveexec_b32 s0, vcc_lo
	s_cbranch_execz .LBB0_11
; %bb.10:
	ds_read2st64_b64 v[16:19], v93 offset1:2
	ds_read2st64_b64 v[20:23], v93 offset0:4 offset1:6
	ds_read2st64_b64 v[24:27], v93 offset0:8 offset1:10
	;; [unrolled: 1-line block ×5, first 2 shown]
	ds_read_b64 v[33:34], v93 offset:12288
.LBB0_11:
	s_or_b32 exec_lo, exec_lo, s0
	s_waitcnt lgkmcnt(0)
	s_barrier
	buffer_gl0_inv
	s_and_saveexec_b32 s0, vcc_lo
	s_cbranch_execz .LBB0_13
; %bb.12:
	v_add_f32_e32 v121, v34, v19
	v_sub_f32_e32 v111, v18, v33
	v_add_f32_e32 v123, v3, v21
	v_sub_f32_e32 v108, v20, v2
	v_add_f32_e32 v124, v1, v23
	v_mul_f32_e32 v125, 0xbf788fa5, v121
	v_sub_f32_e32 v109, v22, v0
	v_mul_f32_e32 v127, 0x3f62ad3f, v123
	v_add_f32_e32 v126, v7, v25
	v_mul_f32_e32 v129, 0xbf3f9e67, v124
	v_fmamk_f32 v73, v111, 0x3e750f2a, v125
	v_sub_f32_e32 v130, v19, v34
	v_fmamk_f32 v74, v108, 0xbeedf032, v127
	v_sub_f32_e32 v107, v24, v6
	v_add_f32_e32 v128, v5, v27
	v_add_f32_e32 v73, v17, v73
	;; [unrolled: 1-line block ×3, first 2 shown]
	v_mul_f32_e32 v131, 0x3f116cb1, v126
	v_fmamk_f32 v75, v109, 0x3f29c268, v129
	v_sub_f32_e32 v132, v21, v3
	v_add_f32_e32 v73, v74, v73
	v_mul_f32_e32 v134, 0xbe750f2a, v130
	v_sub_f32_e32 v110, v26, v4
	v_mul_f32_e32 v133, 0xbeb58ec6, v128
	v_fmamk_f32 v74, v107, 0xbf52af12, v131
	v_add_f32_e32 v73, v75, v73
	v_add_f32_e32 v114, v2, v20
	v_mul_f32_e32 v135, 0x3eedf032, v132
	v_fmamk_f32 v76, v112, 0xbf788fa5, v134
	v_sub_f32_e32 v137, v23, v1
	v_fmamk_f32 v75, v110, 0x3f6f5d39, v133
	v_add_f32_e32 v73, v74, v73
	v_add_f32_e32 v136, v31, v29
	v_fmamk_f32 v74, v114, 0x3f62ad3f, v135
	v_add_f32_e32 v76, v16, v76
	v_add_f32_e32 v115, v0, v22
	v_mul_f32_e32 v138, 0xbf29c268, v137
	v_sub_f32_e32 v140, v25, v7
	v_add_f32_e32 v73, v75, v73
	v_mul_f32_e32 v139, 0x3df6dbef, v136
	v_sub_f32_e32 v113, v28, v30
	v_add_f32_e32 v74, v74, v76
	v_fmamk_f32 v75, v115, 0xbf3f9e67, v138
	v_add_f32_e32 v116, v6, v24
	v_mul_f32_e32 v141, 0x3f52af12, v140
	v_fmamk_f32 v76, v113, 0xbf7e222b, v139
	v_sub_f32_e32 v142, v27, v5
	v_add_f32_e32 v75, v75, v74
	v_mul_f32_e32 v143, 0xbf3f9e67, v121
	v_fmamk_f32 v77, v116, 0x3f116cb1, v141
	v_add_f32_e32 v74, v76, v73
	v_add_f32_e32 v118, v4, v26
	v_mul_f32_e32 v144, 0xbf6f5d39, v142
	v_sub_f32_e32 v145, v29, v31
	v_add_f32_e32 v73, v77, v75
	v_fmamk_f32 v75, v111, 0x3f29c268, v143
	v_mul_f32_e32 v146, 0x3df6dbef, v123
	v_fmamk_f32 v76, v118, 0xbeb58ec6, v144
	v_add_f32_e32 v117, v30, v28
	v_mul_f32_e32 v147, 0x3f7e222b, v145
	v_add_f32_e32 v75, v17, v75
	v_fmamk_f32 v77, v108, 0xbf7e222b, v146
	v_mul_f32_e32 v148, 0x3f116cb1, v124
	v_add_f32_e32 v73, v76, v73
	v_fmamk_f32 v76, v117, 0x3df6dbef, v147
	;; [unrolled: 3-line block ×45, first 2 shown]
	v_mul_f32_e32 v123, 0x3f116cb1, v123
	v_add_f32_e32 v121, v191, v122
	v_add_f32_e32 v19, v19, v17
	v_mul_f32_e32 v124, 0x3df6dbef, v124
	v_add_f32_e32 v122, v188, v185
	v_fmamk_f32 v185, v111, 0x3eedf032, v195
	v_fmamk_f32 v197, v108, 0x3f52af12, v123
	v_add_f32_e32 v19, v21, v19
	v_add_f32_e32 v18, v18, v16
	v_mul_f32_e32 v126, 0xbeb58ec6, v126
	v_add_f32_e32 v185, v17, v185
	v_mul_f32_e32 v128, 0xbf3f9e67, v128
	v_add_f32_e32 v19, v23, v19
	v_add_f32_e32 v18, v20, v18
	v_mul_f32_e32 v23, 0xbeedf032, v130
	v_add_f32_e32 v185, v197, v185
	v_fmamk_f32 v197, v109, 0x3f7e222b, v124
	v_add_f32_e32 v19, v25, v19
	v_add_f32_e32 v18, v22, v18
	v_fmamk_f32 v22, v112, 0x3f62ad3f, v23
	v_mul_f32_e32 v25, 0xbf52af12, v132
	v_add_f32_e32 v21, v197, v185
	v_fmamk_f32 v185, v107, 0x3f6f5d39, v126
	v_add_f32_e32 v19, v27, v19
	v_add_f32_e32 v18, v24, v18
	v_mul_f32_e32 v24, 0xbf7e222b, v137
	v_mul_f32_e32 v27, 0xbf6f5d39, v140
	v_add_f32_e32 v20, v185, v21
	v_fmamk_f32 v21, v110, 0x3f29c268, v128
	v_add_f32_e32 v19, v29, v19
	v_add_f32_e32 v18, v26, v18
	v_mul_f32_e32 v29, 0xbf29c268, v142
	v_fmac_f32_e32 v125, 0xbe750f2a, v111
	v_add_f32_e32 v20, v21, v20
	v_add_f32_e32 v21, v16, v22
	v_fmamk_f32 v22, v114, 0x3f116cb1, v25
	v_add_f32_e32 v19, v31, v19
	v_add_f32_e32 v18, v28, v18
	v_fmac_f32_e32 v127, 0x3eedf032, v108
	v_fmac_f32_e32 v129, 0xbf29c268, v109
	v_add_f32_e32 v21, v22, v21
	v_fmamk_f32 v22, v115, 0x3df6dbef, v24
	v_add_f32_e32 v19, v5, v19
	v_add_f32_e32 v18, v30, v18
	v_fmac_f32_e32 v143, 0xbf29c268, v111
	v_fmac_f32_e32 v131, 0x3f52af12, v107
	v_add_f32_e32 v21, v22, v21
	v_fmamk_f32 v22, v116, 0xbeb58ec6, v27
	v_add_f32_e32 v7, v7, v19
	v_add_f32_e32 v4, v4, v18
	v_fmamk_f32 v19, v118, 0xbf3f9e67, v29
	v_fmac_f32_e32 v146, 0x3f7e222b, v108
	v_add_f32_e32 v18, v22, v21
	v_mul_f32_e32 v22, 0xbe750f2a, v145
	v_add_f32_e32 v1, v1, v7
	v_add_f32_e32 v4, v6, v4
	v_fmac_f32_e32 v133, 0xbf6f5d39, v110
	v_add_f32_e32 v6, v19, v18
	v_fmamk_f32 v7, v117, 0xbf788fa5, v22
	v_add_f32_e32 v1, v3, v1
	v_add_f32_e32 v0, v0, v4
	;; [unrolled: 1-line block ×3, first 2 shown]
	v_fmac_f32_e32 v148, 0xbf52af12, v109
	v_add_f32_e32 v4, v7, v6
	v_fma_f32 v6, 0xbf788fa5, v112, -v134
	v_add_f32_e32 v0, v2, v0
	v_add_f32_e32 v2, v127, v3
	;; [unrolled: 1-line block ×3, first 2 shown]
	v_mul_f32_e32 v26, 0xbf788fa5, v136
	v_add_f32_e32 v3, v16, v6
	v_fma_f32 v6, 0x3f62ad3f, v114, -v135
	v_add_f32_e32 v2, v129, v2
	v_add_f32_e32 v7, v146, v7
	v_fmac_f32_e32 v139, 0x3f7e222b, v113
	v_fma_f32 v18, 0xbeb58ec6, v118, -v144
	v_add_f32_e32 v3, v6, v3
	v_fma_f32 v6, 0xbf3f9e67, v115, -v138
	v_add_f32_e32 v2, v131, v2
	v_add_f32_e32 v7, v148, v7
	v_fmac_f32_e32 v150, 0x3e750f2a, v107
	v_fmamk_f32 v28, v113, 0x3e750f2a, v26
	v_add_f32_e32 v3, v6, v3
	v_fma_f32 v6, 0x3f116cb1, v116, -v141
	v_add_f32_e32 v2, v133, v2
	v_add_f32_e32 v7, v150, v7
	v_fmac_f32_e32 v152, 0x3eedf032, v110
	v_add_f32_e32 v5, v28, v20
	v_add_f32_e32 v6, v6, v3
	;; [unrolled: 1-line block ×3, first 2 shown]
	v_fma_f32 v2, 0xbf3f9e67, v112, -v149
	v_fma_f32 v20, 0x3df6dbef, v114, -v151
	v_fmac_f32_e32 v156, 0xbf6f5d39, v111
	v_add_f32_e32 v6, v18, v6
	v_fma_f32 v18, 0x3df6dbef, v117, -v147
	v_add_f32_e32 v19, v16, v2
	v_fmac_f32_e32 v154, 0xbf6f5d39, v113
	v_fmac_f32_e32 v158, 0x3f29c268, v108
	;; [unrolled: 1-line block ×3, first 2 shown]
	v_add_f32_e32 v2, v18, v6
	v_add_f32_e32 v6, v152, v7
	;; [unrolled: 1-line block ×3, first 2 shown]
	v_fma_f32 v19, 0x3f116cb1, v115, -v153
	v_add_f32_e32 v20, v17, v156
	v_fma_f32 v21, 0xbf3f9e67, v114, -v163
	v_add_f32_e32 v7, v154, v6
	;; [unrolled: 2-line block ×4, first 2 shown]
	v_fmac_f32_e32 v162, 0xbf7e222b, v107
	v_add_f32_e32 v6, v16, v6
	v_fmac_f32_e32 v164, 0x3e750f2a, v110
	v_add_f32_e32 v18, v19, v18
	v_fma_f32 v19, 0x3f62ad3f, v118, -v157
	v_add_f32_e32 v20, v160, v20
	v_add_f32_e32 v6, v21, v6
	v_fma_f32 v21, 0x3f62ad3f, v115, -v165
	v_fma_f32 v28, 0x3df6dbef, v116, -v167
	v_add_f32_e32 v18, v19, v18
	v_fma_f32 v19, 0xbeb58ec6, v117, -v159
	v_add_f32_e32 v20, v162, v20
	v_add_f32_e32 v21, v21, v6
	v_fmac_f32_e32 v168, 0xbf7e222b, v111
	v_fmac_f32_e32 v166, 0x3f52af12, v113
	v_add_f32_e32 v6, v19, v18
	v_add_f32_e32 v18, v164, v20
	;; [unrolled: 1-line block ×3, first 2 shown]
	v_fma_f32 v21, 0xbf788fa5, v118, -v169
	v_add_f32_e32 v28, v17, v168
	v_fmac_f32_e32 v170, 0xbe750f2a, v108
	v_add_f32_e32 v19, v166, v18
	v_fma_f32 v18, 0x3df6dbef, v112, -v173
	v_add_f32_e32 v20, v21, v20
	v_fma_f32 v21, 0x3f116cb1, v117, -v171
	v_add_f32_e32 v28, v170, v28
	v_fmac_f32_e32 v172, 0x3f6f5d39, v109
	v_add_f32_e32 v30, v16, v18
	v_fma_f32 v31, 0xbf788fa5, v114, -v175
	v_add_f32_e32 v18, v21, v20
	v_fmac_f32_e32 v181, 0xbf52af12, v111
	v_add_f32_e32 v20, v172, v28
	v_fmac_f32_e32 v174, 0x3eedf032, v107
	v_add_f32_e32 v21, v31, v30
	v_fma_f32 v28, 0xbeb58ec6, v115, -v178
	v_add_f32_e32 v30, v17, v181
	v_fmac_f32_e32 v184, 0xbf6f5d39, v108
	;; [unrolled: 6-line block ×4, first 2 shown]
	v_add_f32_e32 v21, v179, v20
	v_fma_f32 v20, 0x3f116cb1, v112, -v187
	v_fmac_f32_e32 v195, 0xbeedf032, v111
	v_fma_f32 v23, 0x3f62ad3f, v112, -v23
	v_add_f32_e32 v1, v34, v1
	v_add_f32_e32 v0, v33, v0
	;; [unrolled: 1-line block ×3, first 2 shown]
	v_fma_f32 v31, 0xbf3f9e67, v117, -v182
	v_add_f32_e32 v30, v189, v30
	v_fmac_f32_e32 v190, 0x3f7e222b, v110
	v_add_f32_e32 v33, v16, v20
	v_fma_f32 v34, 0xbeb58ec6, v114, -v177
	v_add_f32_e32 v17, v17, v195
	v_fmac_f32_e32 v123, 0xbf52af12, v108
	v_add_f32_e32 v16, v16, v23
	v_fma_f32 v23, 0x3f116cb1, v114, -v25
	v_mul_f32_e32 v194, 0x3f29c268, v140
	v_add_f32_e32 v20, v31, v28
	v_add_f32_e32 v28, v190, v30
	;; [unrolled: 1-line block ×3, first 2 shown]
	v_fma_f32 v31, 0xbf788fa5, v115, -v192
	v_add_f32_e32 v17, v123, v17
	v_fmac_f32_e32 v124, 0xbf7e222b, v109
	v_add_f32_e32 v16, v23, v16
	v_fma_f32 v23, 0x3df6dbef, v115, -v24
	v_fmamk_f32 v191, v116, 0xbf3f9e67, v194
	v_mul_f32_e32 v196, 0x3f7e222b, v142
	v_add_f32_e32 v25, v31, v30
	v_fma_f32 v30, 0xbf3f9e67, v116, -v194
	v_add_f32_e32 v17, v124, v17
	v_fmac_f32_e32 v126, 0xbf6f5d39, v107
	v_add_f32_e32 v16, v23, v16
	v_fma_f32 v23, 0xbeb58ec6, v116, -v27
	v_add_f32_e32 v121, v191, v121
	v_fmamk_f32 v188, v118, 0x3df6dbef, v196
	v_mul_f32_e32 v191, 0x3eedf032, v145
	v_add_f32_e32 v24, v30, v25
	v_fma_f32 v25, 0x3df6dbef, v118, -v196
	v_add_f32_e32 v17, v126, v17
	v_fmac_f32_e32 v128, 0xbf29c268, v110
	v_add_f32_e32 v16, v23, v16
	v_fma_f32 v23, 0xbf3f9e67, v118, -v29
	v_mov_b32_e32 v27, 3
	v_add_f32_e32 v121, v188, v121
	v_fmamk_f32 v188, v117, 0x3f62ad3f, v191
	v_fmac_f32_e32 v193, 0x3eedf032, v113
	v_add_f32_e32 v24, v25, v24
	v_fma_f32 v25, 0x3f62ad3f, v117, -v191
	v_add_f32_e32 v29, v128, v17
	v_fmac_f32_e32 v26, 0xbe750f2a, v113
	v_add_f32_e32 v30, v23, v16
	v_fma_f32 v22, 0xbf788fa5, v117, -v22
	v_lshlrev_b32_sdwa v27, v27, v94 dst_sel:DWORD dst_unused:UNUSED_PAD src0_sel:DWORD src1_sel:WORD_0
	v_add_f32_e32 v121, v188, v121
	v_add_f32_e32 v17, v193, v28
	;; [unrolled: 1-line block ×5, first 2 shown]
	ds_write2_b64 v27, v[0:1], v[4:5] offset1:1
	ds_write2_b64 v27, v[121:122], v[119:120] offset0:2 offset1:3
	ds_write2_b64 v27, v[77:78], v[75:76] offset0:4 offset1:5
	;; [unrolled: 1-line block ×5, first 2 shown]
	ds_write_b64 v27, v[22:23] offset:96
.LBB0_13:
	s_or_b32 exec_lo, exec_lo, s0
	v_add_nc_u32_e32 v0, 0x1a00, v93
	v_add_nc_u32_e32 v1, 0x2600, v93
	s_waitcnt lgkmcnt(0)
	s_barrier
	buffer_gl0_inv
	ds_read2_b64 v[3:6], v0 offset1:208
	ds_read2_b64 v[16:19], v1 offset0:32 offset1:240
	v_add_nc_u32_e32 v2, 0xc00, v93
	ds_read2_b64 v[20:23], v93 offset1:208
	ds_read2_b64 v[24:27], v2 offset0:32 offset1:240
	s_waitcnt lgkmcnt(0)
	s_barrier
	buffer_gl0_inv
	v_mul_f32_e32 v7, v40, v4
	v_mul_f32_e32 v28, v40, v3
	;; [unrolled: 1-line block ×8, first 2 shown]
	v_fmac_f32_e32 v7, v39, v3
	v_fma_f32 v4, v39, v4, -v28
	v_fmac_f32_e32 v29, v41, v5
	v_fma_f32 v6, v41, v6, -v30
	;; [unrolled: 2-line block ×4, first 2 shown]
	v_sub_f32_e32 v3, v20, v7
	v_sub_f32_e32 v4, v21, v4
	;; [unrolled: 1-line block ×8, first 2 shown]
	v_fma_f32 v20, v20, 2.0, -v3
	v_fma_f32 v21, v21, 2.0, -v4
	;; [unrolled: 1-line block ×8, first 2 shown]
	ds_write2_b64 v98, v[20:21], v[3:4] offset1:13
	ds_write2_b64 v97, v[22:23], v[5:6] offset1:13
	;; [unrolled: 1-line block ×4, first 2 shown]
	s_waitcnt lgkmcnt(0)
	s_barrier
	buffer_gl0_inv
	ds_read2_b64 v[3:6], v0 offset1:208
	ds_read2_b64 v[16:19], v1 offset0:32 offset1:240
	ds_read2_b64 v[20:23], v93 offset1:208
	ds_read2_b64 v[24:27], v2 offset0:32 offset1:240
	s_waitcnt lgkmcnt(0)
	s_barrier
	buffer_gl0_inv
	v_mul_f32_e32 v7, v48, v4
	v_mul_f32_e32 v28, v48, v3
	;; [unrolled: 1-line block ×8, first 2 shown]
	v_fmac_f32_e32 v7, v47, v3
	v_fma_f32 v4, v47, v4, -v28
	v_fmac_f32_e32 v29, v49, v5
	v_fma_f32 v6, v49, v6, -v30
	;; [unrolled: 2-line block ×4, first 2 shown]
	v_sub_f32_e32 v3, v20, v7
	v_sub_f32_e32 v4, v21, v4
	v_sub_f32_e32 v5, v22, v29
	v_sub_f32_e32 v6, v23, v6
	v_sub_f32_e32 v16, v24, v31
	v_sub_f32_e32 v17, v25, v17
	v_sub_f32_e32 v28, v26, v34
	v_sub_f32_e32 v29, v27, v30
	v_fma_f32 v18, v20, 2.0, -v3
	v_fma_f32 v19, v21, 2.0, -v4
	;; [unrolled: 1-line block ×8, first 2 shown]
	ds_write2_b64 v103, v[18:19], v[3:4] offset1:26
	ds_write2_b64 v102, v[20:21], v[5:6] offset1:26
	;; [unrolled: 1-line block ×4, first 2 shown]
	s_waitcnt lgkmcnt(0)
	s_barrier
	buffer_gl0_inv
	ds_read2_b64 v[3:6], v2 offset0:32 offset1:240
	ds_read2_b64 v[16:19], v0 offset1:208
	ds_read2_b64 v[20:23], v1 offset0:32 offset1:240
	ds_read2_b64 v[24:27], v93 offset1:208
	s_waitcnt lgkmcnt(0)
	s_barrier
	buffer_gl0_inv
	v_mul_f32_e32 v7, v13, v4
	v_mul_f32_e32 v13, v13, v3
	;; [unrolled: 1-line block ×5, first 2 shown]
	v_fmac_f32_e32 v7, v12, v3
	v_fma_f32 v3, v12, v4, -v13
	v_mul_f32_e32 v12, v54, v20
	v_mul_f32_e32 v13, v9, v6
	;; [unrolled: 1-line block ×3, first 2 shown]
	v_fmac_f32_e32 v29, v53, v20
	v_fmac_f32_e32 v28, v14, v16
	v_fma_f32 v4, v14, v17, -v15
	v_fma_f32 v12, v53, v21, -v12
	v_fmac_f32_e32 v13, v8, v5
	v_fma_f32 v6, v8, v6, -v9
	v_sub_f32_e32 v8, v7, v29
	v_mul_f32_e32 v14, v11, v19
	v_sub_f32_e32 v9, v24, v28
	v_mul_f32_e32 v5, v11, v18
	v_sub_f32_e32 v15, v25, v4
	v_sub_f32_e32 v12, v3, v12
	v_fma_f32 v4, v7, 2.0, -v8
	v_mul_f32_e32 v7, v52, v23
	v_mul_f32_e32 v16, v52, v22
	v_fmac_f32_e32 v14, v10, v18
	v_fma_f32 v11, v24, 2.0, -v9
	v_fma_f32 v17, v25, 2.0, -v15
	;; [unrolled: 1-line block ×3, first 2 shown]
	v_fma_f32 v10, v10, v19, -v5
	v_fmac_f32_e32 v7, v51, v22
	v_fma_f32 v16, v51, v23, -v16
	v_sub_f32_e32 v3, v11, v4
	v_sub_f32_e32 v4, v17, v18
	;; [unrolled: 1-line block ×6, first 2 shown]
	v_fma_f32 v5, v11, 2.0, -v3
	v_add_f32_e32 v7, v9, v12
	v_fma_f32 v16, v26, 2.0, -v18
	v_fma_f32 v20, v27, 2.0, -v19
	;; [unrolled: 1-line block ×4, first 2 shown]
	v_sub_f32_e32 v8, v15, v8
	v_add_f32_e32 v13, v18, v14
	v_sub_f32_e32 v14, v19, v10
	v_sub_f32_e32 v11, v16, v11
	;; [unrolled: 1-line block ×3, first 2 shown]
	v_fma_f32 v6, v17, 2.0, -v4
	v_fma_f32 v9, v9, 2.0, -v7
	;; [unrolled: 1-line block ×7, first 2 shown]
	ds_write2_b64 v106, v[5:6], v[9:10] offset1:52
	ds_write2_b64 v106, v[3:4], v[7:8] offset0:104 offset1:156
	ds_write2_b64 v105, v[15:16], v[17:18] offset1:52
	ds_write2_b64 v105, v[11:12], v[13:14] offset0:104 offset1:156
	s_waitcnt lgkmcnt(0)
	s_barrier
	buffer_gl0_inv
	ds_read2_b64 v[3:6], v0 offset1:208
	ds_read2_b64 v[7:10], v1 offset0:32 offset1:240
	ds_read2_b64 v[11:14], v93 offset1:208
	ds_read2_b64 v[15:18], v2 offset0:32 offset1:240
	s_waitcnt lgkmcnt(0)
	s_barrier
	buffer_gl0_inv
	v_mul_f32_e32 v19, v60, v4
	v_mul_f32_e32 v20, v60, v3
	;; [unrolled: 1-line block ×5, first 2 shown]
	v_fmac_f32_e32 v19, v59, v3
	v_mul_f32_e32 v3, v60, v5
	v_fma_f32 v4, v59, v4, -v20
	v_mul_f32_e32 v20, v58, v7
	v_fmac_f32_e32 v22, v57, v7
	v_mul_f32_e32 v7, v56, v9
	v_fmac_f32_e32 v21, v59, v5
	v_fma_f32 v6, v59, v6, -v3
	v_fma_f32 v20, v57, v8, -v20
	v_sub_f32_e32 v3, v11, v19
	v_sub_f32_e32 v4, v12, v4
	v_fmac_f32_e32 v23, v55, v9
	v_fma_f32 v10, v55, v10, -v7
	v_sub_f32_e32 v5, v13, v21
	v_sub_f32_e32 v6, v14, v6
	v_fma_f32 v7, v11, 2.0, -v3
	v_fma_f32 v8, v12, 2.0, -v4
	v_sub_f32_e32 v11, v15, v22
	v_sub_f32_e32 v12, v16, v20
	;; [unrolled: 1-line block ×4, first 2 shown]
	v_fma_f32 v9, v13, 2.0, -v5
	v_fma_f32 v10, v14, 2.0, -v6
	;; [unrolled: 1-line block ×5, first 2 shown]
	v_add_nc_u32_e32 v17, 0x1a00, v99
	v_fma_f32 v16, v18, 2.0, -v20
	v_add_nc_u32_e32 v18, 0x2600, v104
	ds_write2_b64 v93, v[7:8], v[3:4] offset1:208
	ds_write2_b64 v2, v[9:10], v[5:6] offset0:32 offset1:240
	ds_write2_b64 v17, v[13:14], v[11:12] offset1:208
	ds_write2_b64 v18, v[15:16], v[19:20] offset0:32 offset1:240
	s_waitcnt lgkmcnt(0)
	s_barrier
	buffer_gl0_inv
	ds_read2_b64 v[3:6], v0 offset1:208
	ds_read2_b64 v[7:10], v1 offset0:32 offset1:240
	ds_read2_b64 v[11:14], v93 offset1:208
	ds_read2_b64 v[15:18], v2 offset0:32 offset1:240
	s_waitcnt lgkmcnt(0)
	s_barrier
	buffer_gl0_inv
	v_mul_f32_e32 v19, v64, v4
	v_mul_f32_e32 v20, v64, v3
	;; [unrolled: 1-line block ×5, first 2 shown]
	v_fmac_f32_e32 v19, v63, v3
	v_mul_f32_e32 v3, v62, v5
	v_fma_f32 v4, v63, v4, -v20
	v_mul_f32_e32 v20, v64, v7
	v_fmac_f32_e32 v22, v63, v7
	v_mul_f32_e32 v7, v62, v9
	v_fmac_f32_e32 v21, v61, v5
	v_fma_f32 v6, v61, v6, -v3
	v_fma_f32 v20, v63, v8, -v20
	v_sub_f32_e32 v3, v11, v19
	v_sub_f32_e32 v4, v12, v4
	v_fmac_f32_e32 v23, v61, v9
	v_fma_f32 v10, v61, v10, -v7
	v_sub_f32_e32 v5, v13, v21
	v_sub_f32_e32 v6, v14, v6
	v_fma_f32 v7, v11, 2.0, -v3
	v_fma_f32 v8, v12, 2.0, -v4
	v_sub_f32_e32 v11, v15, v22
	v_sub_f32_e32 v12, v16, v20
	;; [unrolled: 1-line block ×4, first 2 shown]
	v_fma_f32 v9, v13, 2.0, -v5
	v_fma_f32 v10, v14, 2.0, -v6
	;; [unrolled: 1-line block ×6, first 2 shown]
	ds_write2_b64 v93, v[7:8], v[9:10] offset1:208
	ds_write2_b64 v2, v[3:4], v[5:6] offset0:32 offset1:240
	ds_write2_b64 v0, v[13:14], v[15:16] offset1:208
	ds_write2_b64 v1, v[11:12], v[19:20] offset0:32 offset1:240
	s_waitcnt lgkmcnt(0)
	s_barrier
	buffer_gl0_inv
	ds_read2_b64 v[3:6], v0 offset1:208
	ds_read2_b64 v[7:10], v1 offset0:32 offset1:240
	ds_read2_b64 v[11:14], v93 offset1:208
	ds_read2_b64 v[15:18], v2 offset0:32 offset1:240
	s_waitcnt lgkmcnt(3)
	v_mul_f32_e32 v19, v66, v4
	v_mul_f32_e32 v20, v66, v3
	s_waitcnt lgkmcnt(2)
	v_mul_f32_e32 v22, v70, v8
	v_mul_f32_e32 v21, v72, v6
	;; [unrolled: 1-line block ×3, first 2 shown]
	v_fmac_f32_e32 v19, v65, v3
	v_mul_f32_e32 v3, v72, v5
	v_fma_f32 v4, v65, v4, -v20
	v_mul_f32_e32 v20, v70, v7
	v_fmac_f32_e32 v22, v69, v7
	v_mul_f32_e32 v7, v68, v9
	v_fmac_f32_e32 v21, v71, v5
	v_fma_f32 v6, v71, v6, -v3
	v_fma_f32 v20, v69, v8, -v20
	s_waitcnt lgkmcnt(1)
	v_sub_f32_e32 v3, v11, v19
	v_sub_f32_e32 v4, v12, v4
	v_fmac_f32_e32 v23, v67, v9
	v_fma_f32 v10, v67, v10, -v7
	v_sub_f32_e32 v5, v13, v21
	v_sub_f32_e32 v6, v14, v6
	v_fma_f32 v7, v11, 2.0, -v3
	v_fma_f32 v8, v12, 2.0, -v4
	s_waitcnt lgkmcnt(0)
	v_sub_f32_e32 v11, v15, v22
	v_sub_f32_e32 v12, v16, v20
	;; [unrolled: 1-line block ×4, first 2 shown]
	v_fma_f32 v9, v13, 2.0, -v5
	v_fma_f32 v10, v14, 2.0, -v6
	;; [unrolled: 1-line block ×6, first 2 shown]
	ds_write2_b64 v93, v[7:8], v[9:10] offset1:208
	ds_write2_b64 v0, v[3:4], v[5:6] offset1:208
	ds_write2_b64 v2, v[13:14], v[15:16] offset0:32 offset1:240
	ds_write2_b64 v1, v[11:12], v[19:20] offset0:32 offset1:240
	s_waitcnt lgkmcnt(0)
	s_barrier
	buffer_gl0_inv
	s_and_b32 exec_lo, exec_lo, vcc_lo
	s_cbranch_execz .LBB0_15
; %bb.14:
	v_lshlrev_b32_e32 v0, 3, v81
	v_lshlrev_b32_e32 v1, 3, v82
	v_lshlrev_b32_e32 v2, 3, v83
	s_clause 0x1
	global_load_dwordx2 v[24:25], v92, s[14:15]
	global_load_dwordx2 v[26:27], v92, s[14:15] offset:1024
	v_mad_u64_u32 v[51:52], null, s6, v32, 0
	s_clause 0x2
	global_load_dwordx2 v[28:29], v0, s[14:15]
	global_load_dwordx2 v[30:31], v1, s[14:15]
	;; [unrolled: 1-line block ×3, first 2 shown]
	v_lshlrev_b32_e32 v0, 3, v84
	v_lshlrev_b32_e32 v1, 3, v85
	;; [unrolled: 1-line block ×3, first 2 shown]
	v_mad_u64_u32 v[55:56], null, s4, v79, 0
	s_clause 0x2
	global_load_dwordx2 v[35:36], v0, s[14:15]
	global_load_dwordx2 v[37:38], v1, s[14:15]
	;; [unrolled: 1-line block ×3, first 2 shown]
	v_lshlrev_b32_e32 v0, 3, v87
	v_lshlrev_b32_e32 v1, 3, v88
	;; [unrolled: 1-line block ×3, first 2 shown]
	v_mad_u64_u32 v[57:58], null, s4, v80, 0
	s_clause 0x1
	global_load_dwordx2 v[41:42], v0, s[14:15]
	global_load_dwordx2 v[43:44], v1, s[14:15]
	v_lshlrev_b32_e32 v0, 3, v90
	v_lshlrev_b32_e32 v1, 3, v91
	s_clause 0x2
	global_load_dwordx2 v[45:46], v2, s[14:15]
	global_load_dwordx2 v[47:48], v0, s[14:15]
	;; [unrolled: 1-line block ×3, first 2 shown]
	ds_read_b64 v[53:54], v93
	v_mad_u64_u32 v[59:60], null, s4, v81, 0
	ds_read2st64_b64 v[0:3], v92 offset0:2 offset1:4
	v_mad_u64_u32 v[61:62], null, s4, v82, 0
	v_mad_u64_u32 v[63:64], null, s4, v83, 0
	ds_read2st64_b64 v[4:7], v92 offset0:6 offset1:8
	v_mad_u64_u32 v[65:66], null, s4, v84, 0
	;; [unrolled: 3-line block ×4, first 2 shown]
	s_waitcnt lgkmcnt(4)
	v_mad_u64_u32 v[94:95], null, s7, v32, v[52:53]
	v_mad_u64_u32 v[75:76], null, s4, v89, 0
	;; [unrolled: 1-line block ×4, first 2 shown]
	ds_read2st64_b64 v[16:19], v92 offset0:18 offset1:20
	v_mad_u64_u32 v[77:78], null, s4, v90, 0
	v_mad_u64_u32 v[80:81], null, s5, v81, v[60:61]
	;; [unrolled: 1-line block ×3, first 2 shown]
	ds_read2st64_b64 v[20:23], v92 offset0:22 offset1:24
	v_mad_u64_u32 v[92:93], null, s4, v91, 0
	v_mad_u64_u32 v[82:83], null, s5, v83, v[64:65]
	;; [unrolled: 1-line block ×10, first 2 shown]
	v_mov_b32_e32 v52, v94
	v_mov_b32_e32 v62, v81
	;; [unrolled: 1-line block ×5, first 2 shown]
	v_lshlrev_b64 v[51:52], 3, v[51:52]
	v_mov_b32_e32 v70, v85
	v_mov_b32_e32 v72, v86
	;; [unrolled: 1-line block ×7, first 2 shown]
	v_add_co_u32 v79, vcc_lo, s12, v51
	v_mov_b32_e32 v60, v80
	v_add_co_ci_u32_e32 v80, vcc_lo, s13, v52, vcc_lo
	v_lshlrev_b64 v[51:52], 3, v[92:93]
	v_mov_b32_e32 v56, v95
	s_mov_b32 s0, 0x13b13b14
	s_mov_b32 s1, 0x3f43b13b
	v_lshlrev_b64 v[57:58], 3, v[57:58]
	v_lshlrev_b64 v[59:60], 3, v[59:60]
	v_lshlrev_b64 v[55:56], 3, v[55:56]
	v_lshlrev_b64 v[61:62], 3, v[61:62]
	v_lshlrev_b64 v[63:64], 3, v[63:64]
	v_lshlrev_b64 v[65:66], 3, v[65:66]
	v_lshlrev_b64 v[67:68], 3, v[67:68]
	v_lshlrev_b64 v[69:70], 3, v[69:70]
	v_add_co_u32 v55, vcc_lo, v79, v55
	v_add_co_ci_u32_e32 v56, vcc_lo, v80, v56, vcc_lo
	v_add_co_u32 v57, vcc_lo, v79, v57
	v_add_co_ci_u32_e32 v58, vcc_lo, v80, v58, vcc_lo
	;; [unrolled: 2-line block ×6, first 2 shown]
	v_lshlrev_b64 v[71:72], 3, v[71:72]
	v_add_co_u32 v67, vcc_lo, v79, v67
	v_add_co_ci_u32_e32 v68, vcc_lo, v80, v68, vcc_lo
	v_lshlrev_b64 v[73:74], 3, v[73:74]
	v_add_co_u32 v69, vcc_lo, v79, v69
	v_add_co_ci_u32_e32 v70, vcc_lo, v80, v70, vcc_lo
	;; [unrolled: 3-line block ×4, first 2 shown]
	s_waitcnt vmcnt(12)
	v_mul_f32_e32 v32, v54, v25
	v_mul_f32_e32 v25, v53, v25
	s_waitcnt vmcnt(11) lgkmcnt(5)
	v_mul_f32_e32 v81, v1, v27
	v_mul_f32_e32 v27, v0, v27
	v_fmac_f32_e32 v32, v53, v24
	v_fma_f32 v24, v24, v54, -v25
	s_waitcnt vmcnt(10)
	v_mul_f32_e32 v54, v3, v29
	v_mul_f32_e32 v29, v2, v29
	s_waitcnt vmcnt(9) lgkmcnt(4)
	v_mul_f32_e32 v82, v5, v31
	v_mul_f32_e32 v83, v4, v31
	s_waitcnt vmcnt(8)
	v_mul_f32_e32 v84, v7, v34
	v_mul_f32_e32 v34, v6, v34
	s_waitcnt vmcnt(7) lgkmcnt(3)
	v_mul_f32_e32 v85, v9, v36
	v_mul_f32_e32 v36, v8, v36
	v_fmac_f32_e32 v81, v0, v26
	v_fma_f32 v53, v26, v1, -v27
	s_waitcnt vmcnt(6)
	v_mul_f32_e32 v86, v11, v38
	v_mul_f32_e32 v38, v10, v38
	s_waitcnt vmcnt(5) lgkmcnt(2)
	v_mul_f32_e32 v87, v13, v40
	v_mul_f32_e32 v40, v12, v40
	v_fmac_f32_e32 v54, v2, v28
	v_fma_f32 v28, v28, v3, -v29
	s_waitcnt vmcnt(4)
	v_mul_f32_e32 v88, v15, v42
	v_mul_f32_e32 v42, v14, v42
	v_fmac_f32_e32 v82, v4, v30
	v_fma_f32 v29, v30, v5, -v83
	s_waitcnt vmcnt(3) lgkmcnt(1)
	v_mul_f32_e32 v89, v17, v44
	v_mul_f32_e32 v44, v16, v44
	v_fmac_f32_e32 v84, v6, v33
	v_fma_f32 v30, v33, v7, -v34
	s_waitcnt vmcnt(2)
	v_mul_f32_e32 v90, v19, v46
	v_mul_f32_e32 v46, v18, v46
	v_cvt_f64_f32_e32 v[0:1], v32
	v_cvt_f64_f32_e32 v[24:25], v24
	v_fmac_f32_e32 v85, v8, v35
	v_fma_f32 v33, v35, v9, -v36
	s_waitcnt vmcnt(1) lgkmcnt(0)
	v_mul_f32_e32 v91, v21, v48
	v_mul_f32_e32 v48, v20, v48
	v_cvt_f64_f32_e32 v[26:27], v81
	v_cvt_f64_f32_e32 v[31:32], v53
	v_fmac_f32_e32 v86, v10, v37
	v_fma_f32 v34, v37, v11, -v38
	s_waitcnt vmcnt(0)
	v_mul_f32_e32 v92, v23, v50
	v_mul_f32_e32 v50, v22, v50
	v_fmac_f32_e32 v87, v12, v39
	v_fma_f32 v35, v39, v13, -v40
	v_cvt_f64_f32_e32 v[2:3], v54
	v_cvt_f64_f32_e32 v[4:5], v28
	v_fmac_f32_e32 v88, v14, v41
	v_fma_f32 v36, v41, v15, -v42
	v_cvt_f64_f32_e32 v[6:7], v82
	v_cvt_f64_f32_e32 v[8:9], v29
	;; [unrolled: 4-line block ×6, first 2 shown]
	v_cvt_f64_f32_e32 v[33:34], v88
	v_cvt_f64_f32_e32 v[35:36], v36
	;; [unrolled: 1-line block ×10, first 2 shown]
	v_mul_f64 v[0:1], v[0:1], s[0:1]
	v_mul_f64 v[24:25], v[24:25], s[0:1]
	;; [unrolled: 1-line block ×26, first 2 shown]
	v_cvt_f32_f64_e32 v0, v[0:1]
	v_cvt_f32_f64_e32 v1, v[24:25]
	;; [unrolled: 1-line block ×26, first 2 shown]
	v_add_co_u32 v26, vcc_lo, v79, v75
	v_add_co_ci_u32_e32 v27, vcc_lo, v80, v76, vcc_lo
	v_add_co_u32 v28, vcc_lo, v79, v77
	v_add_co_ci_u32_e32 v29, vcc_lo, v80, v78, vcc_lo
	;; [unrolled: 2-line block ×3, first 2 shown]
	global_store_dwordx2 v[55:56], v[0:1], off
	global_store_dwordx2 v[57:58], v[24:25], off
	;; [unrolled: 1-line block ×13, first 2 shown]
.LBB0_15:
	s_endpgm
	.section	.rodata,"a",@progbits
	.p2align	6, 0x0
	.amdhsa_kernel bluestein_single_back_len1664_dim1_sp_op_CI_CI
		.amdhsa_group_segment_fixed_size 13312
		.amdhsa_private_segment_fixed_size 0
		.amdhsa_kernarg_size 104
		.amdhsa_user_sgpr_count 6
		.amdhsa_user_sgpr_private_segment_buffer 1
		.amdhsa_user_sgpr_dispatch_ptr 0
		.amdhsa_user_sgpr_queue_ptr 0
		.amdhsa_user_sgpr_kernarg_segment_ptr 1
		.amdhsa_user_sgpr_dispatch_id 0
		.amdhsa_user_sgpr_flat_scratch_init 0
		.amdhsa_user_sgpr_private_segment_size 0
		.amdhsa_wavefront_size32 1
		.amdhsa_uses_dynamic_stack 0
		.amdhsa_system_sgpr_private_segment_wavefront_offset 0
		.amdhsa_system_sgpr_workgroup_id_x 1
		.amdhsa_system_sgpr_workgroup_id_y 0
		.amdhsa_system_sgpr_workgroup_id_z 0
		.amdhsa_system_sgpr_workgroup_info 0
		.amdhsa_system_vgpr_workitem_id 0
		.amdhsa_next_free_vgpr 198
		.amdhsa_next_free_sgpr 16
		.amdhsa_reserve_vcc 1
		.amdhsa_reserve_flat_scratch 0
		.amdhsa_float_round_mode_32 0
		.amdhsa_float_round_mode_16_64 0
		.amdhsa_float_denorm_mode_32 3
		.amdhsa_float_denorm_mode_16_64 3
		.amdhsa_dx10_clamp 1
		.amdhsa_ieee_mode 1
		.amdhsa_fp16_overflow 0
		.amdhsa_workgroup_processor_mode 1
		.amdhsa_memory_ordered 1
		.amdhsa_forward_progress 0
		.amdhsa_shared_vgpr_count 0
		.amdhsa_exception_fp_ieee_invalid_op 0
		.amdhsa_exception_fp_denorm_src 0
		.amdhsa_exception_fp_ieee_div_zero 0
		.amdhsa_exception_fp_ieee_overflow 0
		.amdhsa_exception_fp_ieee_underflow 0
		.amdhsa_exception_fp_ieee_inexact 0
		.amdhsa_exception_int_div_zero 0
	.end_amdhsa_kernel
	.text
.Lfunc_end0:
	.size	bluestein_single_back_len1664_dim1_sp_op_CI_CI, .Lfunc_end0-bluestein_single_back_len1664_dim1_sp_op_CI_CI
                                        ; -- End function
	.section	.AMDGPU.csdata,"",@progbits
; Kernel info:
; codeLenInByte = 14388
; NumSgprs: 18
; NumVgprs: 198
; ScratchSize: 0
; MemoryBound: 0
; FloatMode: 240
; IeeeMode: 1
; LDSByteSize: 13312 bytes/workgroup (compile time only)
; SGPRBlocks: 2
; VGPRBlocks: 24
; NumSGPRsForWavesPerEU: 18
; NumVGPRsForWavesPerEU: 198
; Occupancy: 4
; WaveLimiterHint : 1
; COMPUTE_PGM_RSRC2:SCRATCH_EN: 0
; COMPUTE_PGM_RSRC2:USER_SGPR: 6
; COMPUTE_PGM_RSRC2:TRAP_HANDLER: 0
; COMPUTE_PGM_RSRC2:TGID_X_EN: 1
; COMPUTE_PGM_RSRC2:TGID_Y_EN: 0
; COMPUTE_PGM_RSRC2:TGID_Z_EN: 0
; COMPUTE_PGM_RSRC2:TIDIG_COMP_CNT: 0
	.text
	.p2alignl 6, 3214868480
	.fill 48, 4, 3214868480
	.type	__hip_cuid_ce8ab33ea8f8e37d,@object ; @__hip_cuid_ce8ab33ea8f8e37d
	.section	.bss,"aw",@nobits
	.globl	__hip_cuid_ce8ab33ea8f8e37d
__hip_cuid_ce8ab33ea8f8e37d:
	.byte	0                               ; 0x0
	.size	__hip_cuid_ce8ab33ea8f8e37d, 1

	.ident	"AMD clang version 19.0.0git (https://github.com/RadeonOpenCompute/llvm-project roc-6.4.0 25133 c7fe45cf4b819c5991fe208aaa96edf142730f1d)"
	.section	".note.GNU-stack","",@progbits
	.addrsig
	.addrsig_sym __hip_cuid_ce8ab33ea8f8e37d
	.amdgpu_metadata
---
amdhsa.kernels:
  - .args:
      - .actual_access:  read_only
        .address_space:  global
        .offset:         0
        .size:           8
        .value_kind:     global_buffer
      - .actual_access:  read_only
        .address_space:  global
        .offset:         8
        .size:           8
        .value_kind:     global_buffer
      - .actual_access:  read_only
        .address_space:  global
        .offset:         16
        .size:           8
        .value_kind:     global_buffer
      - .actual_access:  read_only
        .address_space:  global
        .offset:         24
        .size:           8
        .value_kind:     global_buffer
      - .actual_access:  read_only
        .address_space:  global
        .offset:         32
        .size:           8
        .value_kind:     global_buffer
      - .offset:         40
        .size:           8
        .value_kind:     by_value
      - .address_space:  global
        .offset:         48
        .size:           8
        .value_kind:     global_buffer
      - .address_space:  global
        .offset:         56
        .size:           8
        .value_kind:     global_buffer
      - .address_space:  global
        .offset:         64
        .size:           8
        .value_kind:     global_buffer
      - .address_space:  global
        .offset:         72
        .size:           8
        .value_kind:     global_buffer
      - .offset:         80
        .size:           4
        .value_kind:     by_value
      - .address_space:  global
        .offset:         88
        .size:           8
        .value_kind:     global_buffer
      - .address_space:  global
        .offset:         96
        .size:           8
        .value_kind:     global_buffer
    .group_segment_fixed_size: 13312
    .kernarg_segment_align: 8
    .kernarg_segment_size: 104
    .language:       OpenCL C
    .language_version:
      - 2
      - 0
    .max_flat_workgroup_size: 208
    .name:           bluestein_single_back_len1664_dim1_sp_op_CI_CI
    .private_segment_fixed_size: 0
    .sgpr_count:     18
    .sgpr_spill_count: 0
    .symbol:         bluestein_single_back_len1664_dim1_sp_op_CI_CI.kd
    .uniform_work_group_size: 1
    .uses_dynamic_stack: false
    .vgpr_count:     198
    .vgpr_spill_count: 0
    .wavefront_size: 32
    .workgroup_processor_mode: 1
amdhsa.target:   amdgcn-amd-amdhsa--gfx1030
amdhsa.version:
  - 1
  - 2
...

	.end_amdgpu_metadata
